;; amdgpu-corpus repo=ROCm/rocFFT kind=compiled arch=gfx950 opt=O3
	.text
	.amdgcn_target "amdgcn-amd-amdhsa--gfx950"
	.amdhsa_code_object_version 6
	.protected	bluestein_single_back_len891_dim1_half_op_CI_CI ; -- Begin function bluestein_single_back_len891_dim1_half_op_CI_CI
	.globl	bluestein_single_back_len891_dim1_half_op_CI_CI
	.p2align	8
	.type	bluestein_single_back_len891_dim1_half_op_CI_CI,@function
bluestein_single_back_len891_dim1_half_op_CI_CI: ; @bluestein_single_back_len891_dim1_half_op_CI_CI
; %bb.0:
	s_load_dwordx4 s[16:19], s[0:1], 0x28
	v_mul_u32_u24_e32 v1, 0x296, v0
	v_lshrrev_b32_e32 v1, 16, v1
	v_mov_b32_e32 v9, 0
	v_lshl_add_u32 v10, s2, 1, v1
	v_mov_b32_e32 v11, v9
	s_waitcnt lgkmcnt(0)
	v_cmp_gt_u64_e32 vcc, s[16:17], v[10:11]
	s_and_saveexec_b64 s[2:3], vcc
	s_cbranch_execz .LBB0_10
; %bb.1:
	s_load_dwordx4 s[4:7], s[0:1], 0x18
	s_load_dwordx4 s[8:11], s[0:1], 0x0
	v_mul_lo_u16_e32 v4, 0x63, v1
	v_sub_u16_e32 v8, v0, v4
	v_mov_b32_e32 v2, s18
	s_waitcnt lgkmcnt(0)
	s_load_dwordx4 s[12:15], s[4:5], 0x0
	v_mov_b32_e32 v3, s19
	v_lshlrev_b32_e32 v16, 2, v8
	global_load_dword v42, v16, s[8:9]
	s_mov_b32 s16, 0xb924
	s_waitcnt lgkmcnt(0)
	v_mad_u64_u32 v[4:5], s[2:3], s14, v10, 0
	v_mov_b32_e32 v0, v5
	v_mad_u64_u32 v[6:7], s[2:3], s15, v10, v[0:1]
	v_mov_b32_e32 v5, v6
	;; [unrolled: 2-line block ×4, first 2 shown]
	v_lshl_add_u64 v[2:3], v[4:5], 2, v[2:3]
	v_lshl_add_u64 v[2:3], v[6:7], 2, v[2:3]
	global_load_dword v0, v[2:3], off
	v_mov_b32_e32 v4, 0x18c
	v_mad_u64_u32 v[2:3], s[2:3], s12, v4, v[2:3]
	s_mul_i32 s4, s13, 0x18c
	v_add_u32_e32 v3, s4, v3
	global_load_dword v5, v[2:3], off
	global_load_dword v41, v16, s[8:9] offset:396
	v_mad_u64_u32 v[2:3], s[2:3], s12, v4, v[2:3]
	v_add_u32_e32 v3, s4, v3
	global_load_dword v6, v[2:3], off
	global_load_dword v40, v16, s[8:9] offset:792
	v_mad_u64_u32 v[2:3], s[2:3], s12, v4, v[2:3]
	;; [unrolled: 4-line block ×7, first 2 shown]
	v_add_u32_e32 v3, s4, v3
	global_load_dword v4, v[2:3], off
	global_load_dword v11, v16, s[8:9] offset:3168
	v_and_b32_e32 v1, 1, v1
	v_mov_b32_e32 v2, 0x37b
	v_cmp_eq_u32_e32 vcc, 1, v1
	s_load_dwordx4 s[4:7], s[6:7], 0x0
	s_movk_i32 s2, 0x3a21
	v_cndmask_b32_e32 v1, 0, v2, vcc
	v_lshlrev_b32_e32 v43, 2, v1
	v_add_u32_e32 v34, v43, v16
	v_add_u32_e32 v17, 0x200, v34
	s_movk_i32 s3, 0x318f
	s_movk_i32 s12, 0x3aee
	s_movk_i32 s13, 0x3be1
	s_movk_i32 s14, 0x3579
	s_mov_b32 s15, 0xbb84
	s_load_dwordx2 s[0:1], s[0:1], 0x38
                                        ; implicit-def: $vgpr56
                                        ; implicit-def: $vgpr55
                                        ; implicit-def: $vgpr57
	s_waitcnt vmcnt(16)
	v_lshrrev_b32_e32 v1, 16, v0
	v_mul_f16_sdwa v2, v42, v0 dst_sel:DWORD dst_unused:UNUSED_PAD src0_sel:WORD_1 src1_sel:DWORD
	v_mul_f16_sdwa v3, v42, v1 dst_sel:DWORD dst_unused:UNUSED_PAD src0_sel:WORD_1 src1_sel:DWORD
	v_fma_f16 v1, v42, v1, -v2
	v_fma_f16 v0, v42, v0, v3
	s_waitcnt vmcnt(15)
	v_lshrrev_b32_e32 v2, 16, v5
	s_waitcnt vmcnt(14)
	v_mul_f16_sdwa v3, v41, v5 dst_sel:DWORD dst_unused:UNUSED_PAD src0_sel:WORD_1 src1_sel:DWORD
	v_pack_b32_f16 v0, v0, v1
	v_mul_f16_sdwa v1, v41, v2 dst_sel:DWORD dst_unused:UNUSED_PAD src0_sel:WORD_1 src1_sel:DWORD
	v_fma_f16 v2, v41, v2, -v3
	v_fma_f16 v1, v41, v5, v1
	s_waitcnt vmcnt(13)
	v_lshrrev_b32_e32 v3, 16, v6
	s_waitcnt vmcnt(12)
	v_mul_f16_sdwa v5, v40, v6 dst_sel:DWORD dst_unused:UNUSED_PAD src0_sel:WORD_1 src1_sel:DWORD
	v_pack_b32_f16 v1, v1, v2
	v_mul_f16_sdwa v2, v40, v3 dst_sel:DWORD dst_unused:UNUSED_PAD src0_sel:WORD_1 src1_sel:DWORD
	v_fma_f16 v3, v40, v3, -v5
	ds_write2_b32 v34, v0, v1 offset1:99
	v_fma_f16 v0, v40, v6, v2
	s_waitcnt vmcnt(11)
	v_lshrrev_b32_e32 v1, 16, v7
	s_waitcnt vmcnt(10)
	v_mul_f16_sdwa v2, v39, v7 dst_sel:DWORD dst_unused:UNUSED_PAD src0_sel:WORD_1 src1_sel:DWORD
	v_pack_b32_f16 v0, v0, v3
	v_mul_f16_sdwa v3, v39, v1 dst_sel:DWORD dst_unused:UNUSED_PAD src0_sel:WORD_1 src1_sel:DWORD
	v_fma_f16 v1, v39, v1, -v2
	v_fma_f16 v2, v39, v7, v3
	s_waitcnt vmcnt(9)
	v_lshrrev_b32_e32 v3, 16, v12
	s_waitcnt vmcnt(8)
	v_mul_f16_sdwa v5, v38, v12 dst_sel:DWORD dst_unused:UNUSED_PAD src0_sel:WORD_1 src1_sel:DWORD
	v_pack_b32_f16 v1, v2, v1
	v_mul_f16_sdwa v2, v38, v3 dst_sel:DWORD dst_unused:UNUSED_PAD src0_sel:WORD_1 src1_sel:DWORD
	v_fma_f16 v3, v38, v3, -v5
	ds_write2_b32 v17, v0, v1 offset0:70 offset1:169
	v_fma_f16 v0, v38, v12, v2
	s_waitcnt vmcnt(7)
	v_lshrrev_b32_e32 v1, 16, v13
	v_pack_b32_f16 v0, v0, v3
	s_waitcnt vmcnt(6)
	v_mul_f16_sdwa v2, v37, v1 dst_sel:DWORD dst_unused:UNUSED_PAD src0_sel:WORD_1 src1_sel:DWORD
	v_mul_f16_sdwa v3, v37, v13 dst_sel:DWORD dst_unused:UNUSED_PAD src0_sel:WORD_1 src1_sel:DWORD
	v_fma_f16 v2, v37, v13, v2
	v_fma_f16 v1, v37, v1, -v3
	v_pack_b32_f16 v2, v2, v1
	v_add_u32_e32 v1, 0x400, v34
	ds_write2_b32 v1, v0, v2 offset0:140 offset1:239
	s_waitcnt vmcnt(5)
	v_lshrrev_b32_e32 v0, 16, v14
	s_waitcnt vmcnt(4)
	v_mul_f16_sdwa v2, v36, v0 dst_sel:DWORD dst_unused:UNUSED_PAD src0_sel:WORD_1 src1_sel:DWORD
	v_mul_f16_sdwa v3, v36, v14 dst_sel:DWORD dst_unused:UNUSED_PAD src0_sel:WORD_1 src1_sel:DWORD
	v_fma_f16 v2, v36, v14, v2
	v_fma_f16 v0, v36, v0, -v3
	v_pack_b32_f16 v2, v2, v0
	s_waitcnt vmcnt(3)
	v_lshrrev_b32_e32 v0, 16, v15
	s_waitcnt vmcnt(2)
	v_mul_f16_sdwa v3, v35, v0 dst_sel:DWORD dst_unused:UNUSED_PAD src0_sel:WORD_1 src1_sel:DWORD
	v_mul_f16_sdwa v5, v35, v15 dst_sel:DWORD dst_unused:UNUSED_PAD src0_sel:WORD_1 src1_sel:DWORD
	v_fma_f16 v3, v35, v15, v3
	v_fma_f16 v0, v35, v0, -v5
	v_pack_b32_f16 v3, v3, v0
	v_add_u32_e32 v0, 0x800, v34
	ds_write2_b32 v0, v2, v3 offset0:82 offset1:181
	s_waitcnt vmcnt(1)
	v_lshrrev_b32_e32 v2, 16, v4
	s_waitcnt vmcnt(0)
	v_mul_f16_sdwa v3, v11, v2 dst_sel:DWORD dst_unused:UNUSED_PAD src0_sel:WORD_1 src1_sel:DWORD
	v_fma_f16 v3, v11, v4, v3
	v_mul_f16_sdwa v4, v11, v4 dst_sel:DWORD dst_unused:UNUSED_PAD src0_sel:WORD_1 src1_sel:DWORD
	v_fma_f16 v2, v11, v2, -v4
	v_pack_b32_f16 v2, v3, v2
	ds_write_b32 v34, v2 offset:3168
	s_waitcnt lgkmcnt(0)
	s_barrier
	ds_read2_b32 v[2:3], v34 offset1:99
	ds_read2_b32 v[4:5], v17 offset0:70 offset1:169
	ds_read_b32 v15, v34 offset:3168
	ds_read2_b32 v[6:7], v0 offset0:82 offset1:181
	ds_read2_b32 v[12:13], v1 offset0:140 offset1:239
	s_waitcnt lgkmcnt(4)
	v_lshrrev_b32_e32 v20, 16, v2
	s_waitcnt lgkmcnt(0)
	v_pk_add_f16 v19, v3, v15
	v_pk_add_f16 v18, v4, v7
	;; [unrolled: 1-line block ×3, first 2 shown]
	v_lshrrev_b32_e32 v22, 16, v19
	v_fma_f16 v14, v19, s2, v2
	v_pk_add_f16 v29, v18, v19
	v_pk_add_f16 v3, v3, v15 neg_lo:[0,1] neg_hi:[0,1]
	v_fma_f16 v23, v22, s2, v20
	v_lshrrev_b32_e32 v24, 16, v18
	v_fma_f16 v25, v18, s3, v14
	v_pk_add_f16 v14, v21, v29
	v_pk_add_f16 v4, v4, v7 neg_lo:[0,1] neg_hi:[0,1]
	v_pk_add_f16 v5, v5, v6 neg_lo:[0,1] neg_hi:[0,1]
	v_mul_f16_e32 v7, 0x3924, v3
	v_fma_f16 v23, v24, s3, v23
	v_pk_add_f16 v14, v12, v14
	v_pk_mul_f16 v6, v5, s12 op_sel_hi:[1,0]
	v_fma_f16 v7, v4, s13, v7
	v_pk_add_f16 v44, v12, v13 neg_lo:[0,1] neg_hi:[0,1]
	v_pk_mul_f16 v47, v21, 0.5 op_sel_hi:[1,0]
	v_pk_add_f16 v12, v12, v13
	v_pk_add_f16 v14, v13, v14
	v_add_f16_e32 v7, v6, v7
	v_sub_f16_sdwa v23, v23, v47 dst_sel:DWORD dst_unused:UNUSED_PAD src0_sel:DWORD src1_sel:WORD_1
	v_lshrrev_b32_e32 v13, 16, v12
	v_fma_f16 v7, v44, s14, v7
	v_fma_f16 v23, v13, s15, v23
	v_sub_f16_e32 v26, v23, v7
	v_fma_f16 v27, v7, 2.0, v26
	v_pk_mul_f16 v7, v44, s16 op_sel_hi:[1,0]
	v_fma_f16 v31, v18, s2, v2
	v_pk_fma_f16 v7, v3, s13, v7 op_sel_hi:[1,0,1]
	v_lshrrev_b32_e32 v32, 16, v3
	v_pk_fma_f16 v5, v5, s12, v7 op_sel_hi:[1,0,1] neg_lo:[1,0,0] neg_hi:[1,0,0]
	v_pk_fma_f16 v7, v12, s2, v2 op_sel_hi:[1,0,1]
	v_pk_fma_f16 v5, v4, s14, v5 op_sel_hi:[1,0,1]
	v_pk_fma_f16 v7, v19, s3, v7 op_sel_hi:[1,0,1]
	v_fma_f16 v24, v24, s2, v20
	v_pk_fma_f16 v7, v21, 0.5, v7 op_sel_hi:[1,0,1] neg_lo:[1,0,0] neg_hi:[1,0,0]
	v_mul_f16_e32 v15, 0x3924, v32
	v_pk_fma_f16 v7, v18, s15, v7 op_sel_hi:[1,0,1]
	v_lshrrev_b32_e32 v33, 16, v4
	v_pk_add_f16 v18, v7, v5 op_sel:[0,1] op_sel_hi:[1,0]
	v_pk_add_f16 v7, v7, v5 op_sel:[0,1] op_sel_hi:[1,0] neg_lo:[0,1] neg_hi:[0,1]
	v_lshrrev_b32_e32 v45, 16, v44
	v_lshrrev_b32_e32 v28, 16, v7
	s_mov_b32 s2, 0xffff
	v_lshrrev_b32_e32 v23, 16, v5
	v_fma_f16 v30, v5, 2.0, v28
	v_mul_f16_e32 v5, 0x3be1, v44
	v_fma_f16 v15, v33, s13, v15
	v_bfi_b32 v50, s2, v18, v7
	v_mul_f16_e32 v7, 0x3be1, v45
	v_fma_f16 v5, v4, s16, -v5
	v_mul_lo_u16_e32 v20, 9, v8
	v_add_f16_sdwa v15, v6, v15 dst_sel:DWORD dst_unused:UNUSED_PAD src0_sel:WORD_1 src1_sel:DWORD
	v_fma_f16 v7, v33, s16, -v7
	v_add_f16_e32 v5, v6, v5
	v_fma_f16 v13, v13, s3, v24
	v_lshl_add_u32 v46, v20, 2, v43
	v_fma_f16 v20, v45, s14, v15
	v_sub_f16_e32 v15, v25, v47
	v_add_f16_sdwa v6, v6, v7 dst_sel:DWORD dst_unused:UNUSED_PAD src0_sel:WORD_1 src1_sel:DWORD
	v_fma_f16 v5, v3, s14, v5
	v_fma_f16 v7, v12, s3, v31
	v_sub_f16_sdwa v13, v13, v47 dst_sel:DWORD dst_unused:UNUSED_PAD src0_sel:DWORD src1_sel:WORD_1
	v_pk_add_f16 v3, v44, v3
	v_pk_add_f16 v14, v14, v2
	v_fma_f16 v15, v12, s15, v15
	v_sub_f16_e32 v7, v7, v47
	v_fma_f16 v13, v22, s15, v13
	v_pk_add_f16 v2, v21, v2
	v_pk_add_f16 v3, v3, v4 neg_lo:[0,1] neg_hi:[0,1]
	v_pk_add_f16 v4, v12, v29
	v_add_f16_e32 v15, v20, v15
	v_fma_f16 v6, v32, s14, v6
	v_fma_f16 v7, v19, s15, v7
	v_sub_f16_e32 v47, v13, v5
	v_pk_mul_f16 v3, v3, s12 op_sel_hi:[1,0]
	v_pk_fma_f16 v2, v4, 0.5, v2 op_sel_hi:[1,0,1] neg_lo:[1,0,0] neg_hi:[1,0,0]
	v_add_f16_e32 v24, v6, v7
	v_fma_f16 v48, v5, 2.0, v47
	v_pack_b32_f16 v5, v15, v26
	v_pk_add_f16 v19, v2, v3 op_sel:[0,1] op_sel_hi:[1,0]
	v_pk_add_f16 v2, v2, v3 op_sel:[0,1] op_sel_hi:[1,0] neg_lo:[0,1] neg_hi:[0,1]
	s_barrier
	v_fma_f16 v25, v6, -2.0, v24
	ds_write2_b32 v46, v14, v5 offset1:1
	v_lshrrev_b32_e32 v5, 16, v3
	v_lshrrev_b32_e32 v33, 16, v2
	v_fma_f16 v23, v23, -2.0, v18
	v_bfi_b32 v4, s2, v19, v2
	v_fma_f16 v22, v5, -2.0, v19
	v_fma_f16 v49, v3, 2.0, v33
	v_pack_b32_f16 v2, v24, v47
	v_pack_b32_f16 v3, v25, v48
	v_fma_f16 v20, v20, -2.0, v15
	ds_write2_b32 v46, v2, v3 offset0:4 offset1:5
	v_pack_b32_f16 v2, v22, v49
	v_pack_b32_f16 v3, v23, v30
	s_movk_i32 s2, 0x51
	v_mov_b32_e32 v17, v9
	ds_write2_b32 v46, v2, v3 offset0:6 offset1:7
	v_pack_b32_f16 v2, v20, v27
	v_cmp_gt_u16_e32 vcc, s2, v8
	ds_write2_b32 v46, v50, v4 offset0:2 offset1:3
	ds_write_b32 v46, v2 offset:32
	s_waitcnt lgkmcnt(0)
	s_barrier
	s_and_saveexec_b64 s[2:3], vcc
	s_cbranch_execz .LBB0_3
; %bb.2:
	ds_read2_b32 v[14:15], v34 offset1:81
	ds_read2_b32 v[18:19], v34 offset0:162 offset1:243
	ds_read2_b32 v[24:25], v1 offset0:68 offset1:149
	v_add_u32_e32 v1, 0x600, v34
	ds_read2_b32 v[22:23], v1 offset0:102 offset1:183
	ds_read2_b32 v[20:21], v0 offset0:136 offset1:217
	ds_read_b32 v55, v34 offset:3240
	s_waitcnt lgkmcnt(5)
	v_lshrrev_b32_e32 v26, 16, v15
	s_waitcnt lgkmcnt(4)
	v_lshrrev_b32_e32 v28, 16, v18
	v_lshrrev_b32_e32 v33, 16, v19
	s_waitcnt lgkmcnt(3)
	v_lshrrev_b32_e32 v47, 16, v24
	;; [unrolled: 3-line block ×5, first 2 shown]
.LBB0_3:
	s_or_b64 exec, exec, s[2:3]
	v_mov_b32_e32 v0, 57
	v_mul_lo_u16_sdwa v0, v8, v0 dst_sel:DWORD dst_unused:UNUSED_PAD src0_sel:BYTE_0 src1_sel:DWORD
	v_lshrrev_b16_e32 v44, 9, v0
	v_mul_lo_u16_e32 v0, 9, v44
	v_sub_u16_e32 v45, v8, v0
	v_mov_b32_e32 v0, 10
	v_mul_u32_u24_sdwa v0, v45, v0 dst_sel:DWORD dst_unused:UNUSED_PAD src0_sel:BYTE_0 src1_sel:DWORD
	v_lshlrev_b32_e32 v29, 2, v0
	global_load_dwordx4 v[0:3], v29, s[10:11]
	global_load_dwordx4 v[4:7], v29, s[10:11] offset:16
	global_load_dwordx2 v[12:13], v29, s[10:11] offset:32
	s_movk_i32 s12, 0x3abb
	s_movk_i32 s13, 0x36a6
	s_mov_b32 s14, 0xb93d
	s_mov_b32 s15, 0xb08e
	;; [unrolled: 1-line block ×7, first 2 shown]
	s_movk_i32 s19, 0x3482
	s_movk_i32 s22, 0x3beb
	s_mov_b32 s21, 0xb482
	s_movk_i32 s23, 0x3853
	s_barrier
	s_waitcnt vmcnt(2)
	v_mul_f16_sdwa v29, v26, v0 dst_sel:DWORD dst_unused:UNUSED_PAD src0_sel:DWORD src1_sel:WORD_1
	v_mul_f16_sdwa v31, v15, v0 dst_sel:DWORD dst_unused:UNUSED_PAD src0_sel:DWORD src1_sel:WORD_1
	;; [unrolled: 1-line block ×5, first 2 shown]
	s_waitcnt vmcnt(1)
	v_mul_f16_sdwa v62, v30, v6 dst_sel:DWORD dst_unused:UNUSED_PAD src0_sel:DWORD src1_sel:WORD_1
	v_mul_f16_sdwa v63, v23, v6 dst_sel:DWORD dst_unused:UNUSED_PAD src0_sel:DWORD src1_sel:WORD_1
	s_waitcnt vmcnt(0)
	v_mul_f16_sdwa v68, v57, v13 dst_sel:DWORD dst_unused:UNUSED_PAD src0_sel:DWORD src1_sel:WORD_1
	v_mul_f16_sdwa v69, v55, v13 dst_sel:DWORD dst_unused:UNUSED_PAD src0_sel:DWORD src1_sel:WORD_1
	;; [unrolled: 1-line block ×7, first 2 shown]
	v_fma_f16 v29, v15, v0, -v29
	v_fma_f16 v15, v26, v0, v31
	v_fma_f16 v31, v18, v1, -v32
	v_fma_f16 v32, v19, v2, -v51
	v_fma_f16 v19, v33, v2, v52
	v_fma_f16 v52, v23, v6, -v62
	v_fma_f16 v23, v30, v6, v63
	;; [unrolled: 2-line block ×3, first 2 shown]
	v_mul_f16_sdwa v60, v49, v5 dst_sel:DWORD dst_unused:UNUSED_PAD src0_sel:DWORD src1_sel:WORD_1
	v_mul_f16_sdwa v64, v27, v7 dst_sel:DWORD dst_unused:UNUSED_PAD src0_sel:DWORD src1_sel:WORD_1
	v_fma_f16 v18, v28, v1, v50
	v_fma_f16 v33, v24, v3, -v53
	v_fma_f16 v24, v47, v3, v54
	v_fma_f16 v54, v21, v12, -v66
	v_fma_f16 v21, v56, v12, v67
	v_sub_f16_e32 v72, v29, v55
	v_sub_f16_e32 v88, v15, v30
	v_mul_f16_sdwa v58, v48, v4 dst_sel:DWORD dst_unused:UNUSED_PAD src0_sel:DWORD src1_sel:WORD_1
	v_mul_f16_sdwa v61, v22, v5 dst_sel:DWORD dst_unused:UNUSED_PAD src0_sel:DWORD src1_sel:WORD_1
	;; [unrolled: 1-line block ×3, first 2 shown]
	v_fma_f16 v51, v22, v5, -v60
	v_fma_f16 v53, v20, v7, -v64
	v_add_f16_e32 v60, v29, v55
	v_add_f16_e32 v68, v15, v30
	v_sub_f16_e32 v73, v31, v54
	v_sub_f16_e32 v89, v18, v21
	v_mul_f16_e32 v56, 0xb853, v88
	v_mul_f16_e32 v62, 0xb853, v72
	;; [unrolled: 1-line block ×3, first 2 shown]
	v_mul_f16_sdwa v59, v25, v4 dst_sel:DWORD dst_unused:UNUSED_PAD src0_sel:DWORD src1_sel:WORD_1
	v_fma_f16 v50, v25, v4, -v58
	v_fma_f16 v22, v49, v5, v61
	v_fma_f16 v20, v27, v7, v65
	v_add_f16_e32 v61, v31, v54
	v_add_f16_e32 v67, v18, v21
	v_sub_f16_e32 v80, v32, v53
	v_mul_f16_e32 v65, 0xbb47, v88
	v_mul_f16_e32 v57, 0xbb47, v89
	;; [unrolled: 1-line block ×4, first 2 shown]
	v_fma_f16 v25, v60, s12, v56
	v_fma_f16 v26, v68, s12, -v62
	v_fma_f16 v47, v68, s13, -v69
	v_fma_f16 v28, v48, v4, v59
	v_sub_f16_e32 v92, v19, v20
	v_add_f16_e32 v74, v19, v20
	v_mul_f16_e32 v66, 0xba0c, v89
	v_mul_f16_e32 v64, 0xbbeb, v80
	v_fma_f16 v27, v60, s13, v65
	v_fma_f16 v48, v61, s13, v57
	v_fma_f16 v49, v67, s13, -v63
	v_fma_f16 v75, v67, s14, -v70
	v_add_f16_e32 v25, v14, v25
	v_add_f16_sdwa v26, v14, v26 dst_sel:DWORD dst_unused:UNUSED_PAD src0_sel:WORD_1 src1_sel:DWORD
	v_add_f16_sdwa v47, v14, v47 dst_sel:DWORD dst_unused:UNUSED_PAD src0_sel:WORD_1 src1_sel:DWORD
	v_add_f16_e32 v59, v32, v53
	v_fma_f16 v71, v61, s14, v66
	v_add_f16_e32 v27, v14, v27
	v_add_f16_e32 v25, v48, v25
	;; [unrolled: 1-line block ×4, first 2 shown]
	v_fma_f16 v48, v74, s15, -v64
	v_mul_f16_e32 v75, 0x3482, v92
	v_mul_f16_e32 v58, 0xbbeb, v92
	v_add_f16_e32 v27, v71, v27
	v_add_f16_e32 v26, v48, v26
	v_fma_f16 v48, v59, s16, v75
	v_mul_f16_e32 v78, 0x3482, v80
	v_sub_f16_e32 v93, v24, v23
	v_fma_f16 v76, v59, s15, v58
	v_add_f16_e32 v27, v48, v27
	v_fma_f16 v48, v74, s16, -v78
	v_add_f16_e32 v82, v33, v52
	v_mul_f16_e32 v71, 0xba0c, v93
	v_sub_f16_e32 v90, v33, v52
	v_add_f16_e32 v25, v76, v25
	v_add_f16_e32 v47, v48, v47
	v_fma_f16 v48, v82, s14, v71
	v_add_f16_e32 v84, v24, v23
	v_mul_f16_e32 v76, 0xba0c, v90
	v_add_f16_e32 v25, v48, v25
	v_fma_f16 v48, v84, s14, -v76
	v_mul_f16_e32 v79, 0x3beb, v93
	v_add_f16_e32 v26, v48, v26
	v_fma_f16 v48, v82, s15, v79
	v_mul_f16_e32 v83, 0x3beb, v90
	v_sub_f16_e32 v94, v28, v22
	v_add_f16_e32 v95, v48, v27
	v_fma_f16 v27, v84, s15, -v83
	v_add_f16_e32 v85, v50, v51
	v_mul_f16_e32 v77, 0xb482, v94
	v_sub_f16_e32 v91, v50, v51
	v_add_f16_e32 v27, v27, v47
	v_fma_f16 v47, v85, s16, v77
	v_add_f16_e32 v87, v28, v22
	v_mul_f16_e32 v81, 0xb482, v91
	v_add_f16_e32 v48, v47, v25
	v_fma_f16 v25, v87, s16, -v81
	v_mul_f16_e32 v86, 0x3853, v91
	v_add_f16_e32 v49, v25, v26
	v_fma_f16 v25, v87, s12, -v86
	v_add_f16_e32 v47, v25, v27
	v_lshl_add_u64 v[26:27], s[8:9], 0, v[16:17]
	v_mul_f16_e32 v16, 0x3853, v94
	v_fma_f16 v17, v85, s12, v16
	v_add_f16_e32 v25, v17, v95
	v_mov_b32_e32 v17, 0
	s_and_saveexec_b64 s[2:3], vcc
	s_cbranch_execz .LBB0_5
; %bb.4:
	v_mul_f16_e32 v95, 0xb08e, v68
	v_fma_f16 v96, v72, s22, v95
	v_mul_f16_e32 v97, 0xbbad, v67
	v_add_f16_sdwa v96, v14, v96 dst_sel:DWORD dst_unused:UNUSED_PAD src0_sel:WORD_1 src1_sel:DWORD
	v_fma_f16 v98, v73, s21, v97
	v_add_f16_e32 v96, v98, v96
	v_mul_f16_e32 v98, 0x36a6, v74
	v_fma_f16 v99, v80, s24, v98
	v_add_f16_e32 v96, v99, v96
	v_mul_f16_e32 v99, 0x3abb, v84
	;; [unrolled: 3-line block ×3, first 2 shown]
	s_movk_i32 s25, 0x3a0c
	v_fma_f16 v101, v91, s25, v100
	v_add_f16_e32 v96, v101, v96
	v_mul_f16_e32 v101, 0xbbeb, v88
	v_fma_f16 v102, v60, s15, v101
	v_mul_f16_e32 v103, 0x3482, v89
	v_add_f16_e32 v102, v14, v102
	v_fma_f16 v104, v61, s16, v103
	v_add_f16_e32 v102, v104, v102
	v_mul_f16_e32 v104, 0x3b47, v92
	v_fma_f16 v105, v59, s13, v104
	v_add_f16_e32 v102, v105, v102
	v_mul_f16_e32 v105, 0xb853, v93
	;; [unrolled: 3-line block ×4, first 2 shown]
	v_fma_f16 v108, v72, s25, v107
	v_mul_f16_e32 v109, 0xb08e, v67
	v_add_f16_sdwa v108, v14, v108 dst_sel:DWORD dst_unused:UNUSED_PAD src0_sel:WORD_1 src1_sel:DWORD
	v_fma_f16 v110, v73, s20, v109
	v_add_f16_e32 v108, v110, v108
	v_mul_f16_e32 v110, 0x3abb, v74
	v_fma_f16 v111, v80, s23, v110
	v_add_f16_e32 v108, v111, v108
	v_mul_f16_e32 v111, 0xbbad, v84
	;; [unrolled: 3-line block ×4, first 2 shown]
	v_fma_f16 v114, v60, s14, v113
	v_mul_f16_e32 v115, 0x3beb, v89
	v_add_f16_e32 v114, v14, v114
	v_fma_f16 v116, v61, s15, v115
	v_add_f16_e32 v114, v116, v114
	v_mul_f16_e32 v116, 0xb853, v92
	v_fma_f16 v117, v59, s12, v116
	v_add_f16_e32 v114, v117, v114
	v_mul_f16_e32 v117, 0xb482, v93
	;; [unrolled: 3-line block ×4, first 2 shown]
	v_fma_f16 v120, v72, s19, v119
	v_mul_f16_e32 v121, 0x3abb, v67
	v_add_f16_sdwa v120, v14, v120 dst_sel:DWORD dst_unused:UNUSED_PAD src0_sel:WORD_1 src1_sel:DWORD
	v_fma_f16 v122, v73, s18, v121
	v_add_f16_e32 v120, v122, v120
	v_mul_f16_e32 v122, 0xb93d, v74
	v_fma_f16 v123, v80, s25, v122
	v_add_f16_e32 v120, v123, v120
	v_mul_f16_e32 v123, 0x36a6, v84
	;; [unrolled: 3-line block ×3, first 2 shown]
	v_fma_f16 v125, v91, s22, v124
	v_mul_f16_e32 v88, 0xb482, v88
	v_add_f16_e32 v120, v125, v120
	v_fma_f16 v125, v60, s16, v88
	v_mul_f16_e32 v89, 0x3853, v89
	v_fma_f16 v88, v60, s16, -v88
	v_fma_f16 v126, v61, s12, v89
	v_mul_f16_e32 v92, 0xba0c, v92
	v_add_f16_e32 v88, v14, v88
	v_fma_f16 v89, v61, s12, -v89
	v_mul_f16_e32 v93, 0x3b47, v93
	v_add_f16_e32 v88, v89, v88
	v_fma_f16 v89, v59, s14, -v92
	v_mul_f16_e32 v94, 0xbbeb, v94
	v_add_f16_e32 v88, v89, v88
	v_fma_f16 v89, v82, s13, -v93
	v_add_f16_e32 v88, v89, v88
	v_fma_f16 v89, v85, s15, -v94
	v_add_f16_e32 v125, v14, v125
	v_add_f16_e32 v88, v89, v88
	v_fma_f16 v89, v72, s17, v107
	v_add_f16_e32 v125, v126, v125
	v_fma_f16 v126, v59, s14, v92
	v_add_f16_sdwa v89, v14, v89 dst_sel:DWORD dst_unused:UNUSED_PAD src0_sel:WORD_1 src1_sel:DWORD
	v_fma_f16 v92, v73, s22, v109
	v_add_f16_e32 v89, v92, v89
	v_fma_f16 v92, v80, s18, v110
	v_fma_f16 v121, v73, s23, v121
	s_movk_i32 s23, 0x3b47
	v_add_f16_e32 v89, v92, v89
	v_fma_f16 v92, v90, s21, v111
	v_add_f16_e32 v89, v92, v89
	v_fma_f16 v92, v91, s23, v112
	v_add_f16_e32 v89, v92, v89
	v_fma_f16 v92, v60, s14, -v113
	v_add_f16_e32 v125, v126, v125
	v_fma_f16 v126, v82, s13, v93
	v_fma_f16 v119, v72, s21, v119
	v_add_f16_e32 v92, v14, v92
	v_fma_f16 v93, v61, s15, -v115
	v_fma_f16 v72, v72, s20, v95
	v_add_f16_sdwa v119, v14, v119 dst_sel:DWORD dst_unused:UNUSED_PAD src0_sel:WORD_1 src1_sel:DWORD
	v_add_f16_e32 v92, v93, v92
	v_fma_f16 v93, v59, s12, -v116
	v_fma_f16 v73, v73, s19, v97
	v_add_f16_sdwa v72, v14, v72 dst_sel:DWORD dst_unused:UNUSED_PAD src0_sel:WORD_1 src1_sel:DWORD
	v_add_f16_e32 v119, v121, v119
	v_fma_f16 v121, v80, s17, v122
	v_add_f16_e32 v92, v93, v92
	v_fma_f16 v93, v82, s16, -v117
	v_add_f16_e32 v72, v73, v72
	v_fma_f16 v80, v80, s23, v98
	v_add_f16_e32 v119, v121, v119
	v_fma_f16 v121, v90, s23, v123
	v_add_f16_e32 v92, v93, v92
	v_fma_f16 v93, v85, s13, -v118
	v_mul_f16_e32 v73, 0x36a6, v60
	v_add_f16_e32 v72, v80, v72
	v_fma_f16 v90, v90, s18, v99
	v_add_f16_e32 v119, v121, v119
	v_fma_f16 v121, v91, s20, v124
	v_add_f16_e32 v92, v93, v92
	v_mul_f16_e32 v93, 0x3abb, v60
	v_mul_f16_e32 v97, 0xb93d, v61
	v_add_f16_e32 v72, v90, v72
	v_fma_f16 v91, v91, s17, v100
	v_fma_f16 v60, v60, s15, -v101
	v_sub_f16_e32 v65, v73, v65
	v_mul_f16_e32 v95, 0x36a6, v61
	v_add_f16_e32 v72, v91, v72
	v_mul_f16_e32 v91, 0xbbad, v59
	v_fma_f16 v61, v61, s16, -v103
	v_add_f16_e32 v60, v14, v60
	v_add_f16_e32 v65, v14, v65
	v_sub_f16_e32 v66, v97, v66
	v_add_f16_e32 v60, v61, v60
	v_mul_f16_e32 v61, 0xb08e, v82
	v_add_f16_e32 v65, v66, v65
	v_sub_f16_e32 v66, v91, v75
	v_mul_f16_e32 v103, 0x3abb, v85
	v_add_f16_e32 v65, v66, v65
	v_sub_f16_e32 v61, v61, v79
	v_add_f16_e32 v125, v126, v125
	v_fma_f16 v126, v85, s15, v94
	v_mul_f16_e32 v94, 0x3abb, v68
	v_mul_f16_e32 v68, 0x36a6, v68
	v_add_f16_e32 v61, v61, v65
	v_sub_f16_e32 v16, v103, v16
	v_add_f16_e32 v68, v69, v68
	v_add_f16_e32 v16, v16, v61
	;; [unrolled: 1-line block ×3, first 2 shown]
	v_sub_f16_e32 v56, v93, v56
	v_add_f16_sdwa v68, v14, v68 dst_sel:DWORD dst_unused:UNUSED_PAD src0_sel:WORD_1 src1_sel:DWORD
	v_add_f16_sdwa v61, v14, v61 dst_sel:DWORD dst_unused:UNUSED_PAD src0_sel:WORD_1 src1_sel:DWORD
	v_add_f16_e32 v56, v14, v56
	v_add_f16_e32 v29, v14, v29
	v_add_f16_sdwa v14, v14, v15 dst_sel:DWORD dst_unused:UNUSED_PAD src0_sel:WORD_1 src1_sel:DWORD
	v_add_f16_e32 v29, v29, v31
	v_add_f16_e32 v14, v14, v18
	;; [unrolled: 1-line block ×6, first 2 shown]
	v_mul_f16_e32 v80, 0x36a6, v67
	v_add_f16_e32 v29, v29, v50
	v_add_f16_e32 v14, v14, v28
	v_mul_f16_e32 v67, 0xb93d, v67
	v_mul_f16_e32 v90, 0xb08e, v59
	;; [unrolled: 1-line block ×3, first 2 shown]
	v_add_f16_e32 v62, v63, v80
	v_sub_f16_e32 v57, v95, v57
	v_add_f16_e32 v29, v29, v51
	v_add_f16_e32 v14, v14, v22
	v_mul_f16_e32 v74, 0xbbad, v74
	v_mul_f16_e32 v99, 0xb93d, v82
	;; [unrolled: 1-line block ×3, first 2 shown]
	v_fma_f16 v59, v59, s13, -v104
	v_add_f16_e32 v67, v70, v67
	v_add_f16_e32 v61, v62, v61
	;; [unrolled: 1-line block ×4, first 2 shown]
	v_sub_f16_e32 v57, v90, v58
	v_add_f16_e32 v29, v29, v52
	v_add_f16_e32 v14, v14, v23
	v_mul_f16_e32 v84, 0xb08e, v84
	v_mul_f16_e32 v101, 0xbbad, v85
	v_add_f16_e32 v59, v59, v60
	v_mul_f16_e32 v60, 0xbbad, v87
	v_add_f16_e32 v67, v67, v68
	v_add_f16_e32 v68, v78, v74
	;; [unrolled: 1-line block ×5, first 2 shown]
	v_sub_f16_e32 v57, v99, v71
	v_add_f16_e32 v29, v29, v53
	v_add_f16_e32 v14, v14, v20
	v_fma_f16 v82, v82, s12, -v105
	v_mul_f16_e32 v87, 0x3abb, v87
	v_add_f16_e32 v67, v68, v67
	v_add_f16_e32 v68, v83, v84
	;; [unrolled: 1-line block ×5, first 2 shown]
	v_sub_f16_e32 v57, v101, v77
	v_add_f16_e32 v29, v29, v54
	v_add_f16_e32 v14, v14, v21
	v_mul_u32_u24_e32 v15, 0x63, v44
	v_add_f16_e32 v59, v82, v59
	v_fma_f16 v82, v85, s14, -v106
	v_add_f16_e32 v67, v68, v67
	v_add_f16_e32 v68, v86, v87
	;; [unrolled: 1-line block ×6, first 2 shown]
	v_add_u32_sdwa v15, v15, v45 dst_sel:DWORD dst_unused:UNUSED_PAD src0_sel:DWORD src1_sel:BYTE_0
	v_add_f16_e32 v59, v82, v59
	v_add_f16_e32 v67, v68, v67
	v_lshl_add_u32 v15, v15, 2, v43
	v_pack_b32_f16 v14, v29, v14
	v_pack_b32_f16 v18, v56, v60
	v_add_f16_e32 v119, v121, v119
	ds_write2_b32 v15, v14, v18 offset1:9
	v_pack_b32_f16 v14, v16, v67
	v_pack_b32_f16 v16, v59, v72
	v_add_f16_e32 v125, v126, v125
	ds_write2_b32 v15, v14, v16 offset0:18 offset1:27
	v_pack_b32_f16 v14, v92, v89
	v_pack_b32_f16 v16, v88, v119
	ds_write2_b32 v15, v14, v16 offset0:36 offset1:45
	v_pack_b32_f16 v14, v125, v120
	v_pack_b32_f16 v16, v114, v108
	s_mov_b32 s12, 0x5040100
	ds_write2_b32 v15, v14, v16 offset0:54 offset1:63
	v_pack_b32_f16 v14, v102, v96
	v_perm_b32 v16, v47, v25, s12
	ds_write2_b32 v15, v14, v16 offset0:72 offset1:81
	v_perm_b32 v14, v49, v48, s12
	ds_write_b32 v15, v14 offset:360
.LBB0_5:
	s_or_b64 exec, exec, s[2:3]
	s_mov_b64 s[2:3], 0xc6
	s_mov_b32 s12, 0xa57f
	v_lshl_add_u64 v[22:23], v[8:9], 0, s[2:3]
	v_mul_u32_u24_sdwa v9, v22, s12 dst_sel:DWORD dst_unused:UNUSED_PAD src0_sel:WORD_0 src1_sel:DWORD
	v_lshlrev_b32_e32 v24, 3, v8
	v_lshrrev_b32_e32 v9, 22, v9
	s_waitcnt lgkmcnt(0)
	s_barrier
	global_load_dwordx2 v[14:15], v24, s[10:11] offset:360
	v_mul_lo_u16_e32 v9, 0x63, v9
	v_sub_u16_e32 v9, v22, v9
	v_lshlrev_b16_e32 v16, 3, v9
	v_lshl_add_u64 v[16:17], s[10:11], 0, v[16:17]
	global_load_dwordx2 v[16:17], v[16:17], off offset:360
	v_add_u32_e32 v53, 0x200, v34
	ds_read2_b32 v[18:19], v34 offset1:99
	v_add_u32_e32 v51, 0x800, v34
	v_add_u32_e32 v52, 0x400, v34
	ds_read_b32 v23, v34 offset:3168
	ds_read2_b32 v[20:21], v53 offset0:70 offset1:169
	ds_read2_b32 v[28:29], v51 offset0:82 offset1:181
	;; [unrolled: 1-line block ×3, first 2 shown]
	s_waitcnt lgkmcnt(4)
	v_lshrrev_b32_e32 v33, 16, v19
	s_movk_i32 s12, 0x3aee
	s_waitcnt lgkmcnt(2)
	v_lshrrev_b32_e32 v54, 16, v21
	s_waitcnt lgkmcnt(1)
	v_lshrrev_b32_e32 v55, 16, v28
	;; [unrolled: 2-line block ×3, first 2 shown]
	v_lshrrev_b32_e32 v57, 16, v29
	s_mov_b32 s13, 0xbaee
	v_lshrrev_b32_e32 v32, 16, v18
	v_lshrrev_b32_e32 v50, 16, v23
	;; [unrolled: 1-line block ×4, first 2 shown]
	s_barrier
	v_lshl_add_u32 v9, v9, 2, v43
	v_lshlrev_b32_e32 v22, 3, v22
	s_add_u32 s2, s8, 0xdec
	s_addc_u32 s3, s9, 0
	s_movk_i32 s9, 0x3be1
	s_movk_i32 s8, 0x318f
	s_waitcnt vmcnt(1)
	v_mul_f16_sdwa v60, v54, v14 dst_sel:DWORD dst_unused:UNUSED_PAD src0_sel:DWORD src1_sel:WORD_1
	v_mul_f16_sdwa v62, v55, v15 dst_sel:DWORD dst_unused:UNUSED_PAD src0_sel:DWORD src1_sel:WORD_1
	;; [unrolled: 1-line block ×8, first 2 shown]
	v_fma_f16 v21, v21, v14, -v60
	v_fma_f16 v28, v28, v15, -v62
	v_fma_f16 v56, v56, v14, v65
	v_fma_f16 v57, v57, v15, v67
	;; [unrolled: 1-line block ×4, first 2 shown]
	v_fma_f16 v30, v30, v14, -v64
	v_fma_f16 v29, v29, v15, -v66
	v_add_f16_e32 v61, v21, v28
	v_sub_f16_e32 v66, v56, v57
	v_add_f16_e32 v67, v33, v56
	v_add_f16_e32 v56, v56, v57
	;; [unrolled: 1-line block ×3, first 2 shown]
	v_sub_f16_e32 v62, v54, v55
	v_add_f16_e32 v64, v19, v30
	v_add_f16_e32 v65, v30, v29
	v_sub_f16_e32 v30, v30, v29
	v_fma_f16 v18, v61, -0.5, v18
	v_fma_f16 v33, v56, -0.5, v33
	v_add_f16_e32 v63, v32, v54
	v_sub_f16_e32 v21, v21, v28
	v_add_f16_e32 v28, v60, v28
	v_fma_f16 v56, v62, s12, v18
	v_fma_f16 v18, v62, s13, v18
	;; [unrolled: 1-line block ×4, first 2 shown]
	s_waitcnt vmcnt(0)
	v_mul_f16_sdwa v33, v59, v16 dst_sel:DWORD dst_unused:UNUSED_PAD src0_sel:DWORD src1_sel:WORD_1
	v_mul_f16_sdwa v62, v50, v17 dst_sel:DWORD dst_unused:UNUSED_PAD src0_sel:DWORD src1_sel:WORD_1
	v_add_f16_e32 v54, v54, v55
	v_add_f16_e32 v55, v63, v55
	v_mul_f16_sdwa v61, v31, v16 dst_sel:DWORD dst_unused:UNUSED_PAD src0_sel:DWORD src1_sel:WORD_1
	v_mul_f16_sdwa v63, v23, v17 dst_sel:DWORD dst_unused:UNUSED_PAD src0_sel:DWORD src1_sel:WORD_1
	v_fma_f16 v31, v31, v16, -v33
	v_fma_f16 v23, v23, v17, -v62
	v_fma_f16 v33, v59, v16, v61
	v_fma_f16 v50, v50, v17, v63
	v_add_f16_e32 v61, v31, v23
	v_fma_f16 v32, v54, -0.5, v32
	v_add_f16_e32 v59, v20, v31
	v_sub_f16_e32 v62, v33, v50
	v_fma_f16 v20, v61, -0.5, v20
	v_add_f16_e32 v29, v64, v29
	v_fma_f16 v19, v65, -0.5, v19
	v_add_f16_e32 v54, v67, v57
	v_fma_f16 v57, v21, s13, v32
	v_fma_f16 v21, v21, s12, v32
	;; [unrolled: 1-line block ×4, first 2 shown]
	v_add_f16_e32 v62, v58, v33
	v_add_f16_e32 v33, v33, v50
	v_fma_f16 v32, v66, s12, v19
	v_fma_f16 v19, v66, s13, v19
	v_add_f16_e32 v59, v59, v23
	v_fma_f16 v33, v33, -0.5, v58
	v_sub_f16_e32 v23, v31, v23
	v_pack_b32_f16 v18, v18, v21
	v_pack_b32_f16 v21, v29, v54
	v_add_f16_e32 v62, v62, v50
	v_fma_f16 v31, v23, s13, v33
	ds_write2_b32 v53, v18, v21 offset0:70 offset1:169
	v_pack_b32_f16 v18, v32, v60
	v_pack_b32_f16 v19, v19, v30
	v_fma_f16 v23, v23, s12, v33
	v_pack_b32_f16 v28, v28, v55
	v_pack_b32_f16 v33, v56, v57
	ds_write2_b32 v52, v18, v19 offset0:140 offset1:239
	v_pack_b32_f16 v18, v59, v62
	v_pack_b32_f16 v19, v61, v31
	v_add_u32_e32 v21, 0x800, v9
	ds_write2_b32 v34, v28, v33 offset1:99
	ds_write2_b32 v21, v18, v19 offset0:82 offset1:181
	v_pack_b32_f16 v18, v20, v23
	ds_write_b32 v9, v18 offset:3168
	s_waitcnt lgkmcnt(0)
	s_barrier
	global_load_dwordx2 v[18:19], v24, s[10:11] offset:1152
	v_add_u32_e32 v20, 0x318, v24
	global_load_dwordx2 v[22:23], v22, s[10:11] offset:1152
	s_nop 0
	global_load_dwordx2 v[20:21], v20, s[10:11] offset:1152
	ds_read2_b32 v[28:29], v34 offset1:99
	ds_read2_b32 v[30:31], v53 offset0:70 offset1:169
	ds_read2_b32 v[32:33], v51 offset0:82 offset1:181
	;; [unrolled: 1-line block ×3, first 2 shown]
	ds_read_b32 v24, v34 offset:3168
	s_waitcnt lgkmcnt(4)
	v_lshrrev_b32_e32 v50, 16, v28
	s_waitcnt lgkmcnt(3)
	v_lshrrev_b32_e32 v56, 16, v31
	;; [unrolled: 2-line block ×4, first 2 shown]
	v_lshrrev_b32_e32 v60, 16, v33
	v_lshrrev_b32_e32 v62, 16, v55
	s_waitcnt lgkmcnt(0)
	v_lshrrev_b32_e32 v63, 16, v24
	v_lshrrev_b32_e32 v58, 16, v29
	;; [unrolled: 1-line block ×3, first 2 shown]
	s_movk_i32 s10, 0x3579
	s_mov_b32 s11, 0xbb84
	s_waitcnt vmcnt(2)
	v_mul_f16_sdwa v64, v56, v18 dst_sel:DWORD dst_unused:UNUSED_PAD src0_sel:DWORD src1_sel:WORD_1
	v_mul_f16_sdwa v65, v31, v18 dst_sel:DWORD dst_unused:UNUSED_PAD src0_sel:DWORD src1_sel:WORD_1
	;; [unrolled: 1-line block ×4, first 2 shown]
	s_waitcnt vmcnt(0)
	v_mul_f16_sdwa v68, v59, v20 dst_sel:DWORD dst_unused:UNUSED_PAD src0_sel:DWORD src1_sel:WORD_1
	v_mul_f16_sdwa v70, v60, v21 dst_sel:DWORD dst_unused:UNUSED_PAD src0_sel:DWORD src1_sel:WORD_1
	v_fma_f16 v31, v31, v18, -v64
	v_fma_f16 v56, v56, v18, v65
	v_fma_f16 v32, v32, v19, -v66
	v_fma_f16 v57, v57, v19, v67
	v_mul_f16_sdwa v69, v54, v20 dst_sel:DWORD dst_unused:UNUSED_PAD src0_sel:DWORD src1_sel:WORD_1
	v_mul_f16_sdwa v71, v33, v21 dst_sel:DWORD dst_unused:UNUSED_PAD src0_sel:DWORD src1_sel:WORD_1
	v_fma_f16 v54, v54, v20, -v68
	v_fma_f16 v33, v33, v21, -v70
	v_add_f16_e32 v65, v31, v32
	v_sub_f16_e32 v66, v56, v57
	v_add_f16_e32 v67, v50, v56
	v_add_f16_e32 v56, v56, v57
	v_fma_f16 v59, v59, v20, v69
	v_fma_f16 v60, v60, v21, v71
	v_add_f16_e32 v64, v28, v31
	v_fma_f16 v28, v65, -0.5, v28
	v_fma_f16 v50, v56, -0.5, v50
	v_sub_f16_e32 v31, v31, v32
	v_add_f16_e32 v65, v54, v33
	v_mul_f16_sdwa v72, v62, v22 dst_sel:DWORD dst_unused:UNUSED_PAD src0_sel:DWORD src1_sel:WORD_1
	v_mul_f16_sdwa v74, v63, v23 dst_sel:DWORD dst_unused:UNUSED_PAD src0_sel:DWORD src1_sel:WORD_1
	v_add_f16_e32 v64, v64, v32
	v_fma_f16 v32, v31, s13, v50
	v_fma_f16 v31, v31, s12, v50
	v_add_f16_e32 v50, v29, v54
	v_fma_f16 v29, v65, -0.5, v29
	v_sub_f16_e32 v65, v59, v60
	v_mul_f16_sdwa v73, v55, v22 dst_sel:DWORD dst_unused:UNUSED_PAD src0_sel:DWORD src1_sel:WORD_1
	v_mul_f16_sdwa v75, v24, v23 dst_sel:DWORD dst_unused:UNUSED_PAD src0_sel:DWORD src1_sel:WORD_1
	v_fma_f16 v55, v55, v22, -v72
	v_fma_f16 v24, v24, v23, -v74
	v_fma_f16 v56, v66, s12, v28
	v_fma_f16 v28, v66, s13, v28
	;; [unrolled: 1-line block ×4, first 2 shown]
	v_add_f16_e32 v65, v58, v59
	v_add_f16_e32 v59, v59, v60
	v_fma_f16 v62, v62, v22, v73
	v_fma_f16 v63, v63, v23, v75
	v_add_f16_e32 v57, v67, v57
	v_add_f16_e32 v50, v50, v33
	;; [unrolled: 1-line block ×3, first 2 shown]
	v_fma_f16 v58, v59, -0.5, v58
	v_sub_f16_e32 v33, v54, v33
	v_add_f16_e32 v59, v55, v24
	v_pack_b32_f16 v28, v28, v31
	v_fma_f16 v54, v33, s13, v58
	v_fma_f16 v33, v33, s12, v58
	v_add_f16_e32 v58, v30, v55
	v_fma_f16 v30, v59, -0.5, v30
	v_sub_f16_e32 v59, v62, v63
	v_pack_b32_f16 v57, v64, v57
	v_pack_b32_f16 v32, v56, v32
	ds_write_b32 v34, v28 offset:2376
	v_pack_b32_f16 v28, v50, v65
	v_fma_f16 v60, v59, s12, v30
	v_fma_f16 v30, v59, s13, v30
	v_add_f16_e32 v59, v61, v62
	v_add_f16_e32 v62, v62, v63
	ds_write_b32 v34, v32 offset:1188
	ds_write2_b32 v34, v57, v28 offset1:99
	v_lshl_add_u32 v50, v8, 2, v43
	v_pack_b32_f16 v28, v66, v54
	v_add_f16_e32 v58, v58, v24
	v_add_f16_e32 v59, v59, v63
	v_fma_f16 v61, v62, -0.5, v61
	v_sub_f16_e32 v24, v55, v24
	ds_write_b32 v50, v28 offset:1584
	v_pack_b32_f16 v28, v29, v33
	v_fma_f16 v55, v24, s13, v61
	v_fma_f16 v24, v24, s12, v61
	ds_write_b32 v50, v28 offset:2772
	v_pack_b32_f16 v28, v58, v59
	ds_write_b32 v34, v28 offset:792
	v_pack_b32_f16 v28, v60, v55
	v_pack_b32_f16 v24, v30, v24
	ds_write_b32 v34, v28 offset:1980
	ds_write_b32 v34, v24 offset:3168
	s_waitcnt lgkmcnt(0)
	s_barrier
	global_load_dword v24, v[26:27], off offset:3564
	v_lshlrev_b32_e32 v26, 2, v8
	global_load_dword v30, v26, s[2:3] offset:396
	global_load_dword v31, v26, s[2:3] offset:792
	;; [unrolled: 1-line block ×8, first 2 shown]
	ds_read2_b32 v[26:27], v34 offset1:99
	ds_read2_b32 v[28:29], v53 offset0:70 offset1:169
	s_movk_i32 s3, 0x3a21
	s_mov_b32 s13, 0xb924
	s_mov_b32 s2, 0xffff
	s_waitcnt lgkmcnt(1)
	v_lshrrev_b32_e32 v58, 16, v26
	v_lshrrev_b32_e32 v59, 16, v27
	s_waitcnt lgkmcnt(0)
	v_lshrrev_b32_e32 v61, 16, v29
	v_lshrrev_b32_e32 v60, 16, v28
	s_waitcnt vmcnt(7)
	v_mul_f16_sdwa v64, v59, v30 dst_sel:DWORD dst_unused:UNUSED_PAD src0_sel:DWORD src1_sel:WORD_1
	v_mul_f16_sdwa v65, v27, v30 dst_sel:DWORD dst_unused:UNUSED_PAD src0_sel:DWORD src1_sel:WORD_1
	v_fma_f16 v27, v27, v30, -v64
	v_fma_f16 v30, v59, v30, v65
	s_waitcnt vmcnt(5)
	v_mul_f16_sdwa v68, v61, v32 dst_sel:DWORD dst_unused:UNUSED_PAD src0_sel:DWORD src1_sel:WORD_1
	v_mul_f16_sdwa v62, v58, v24 dst_sel:DWORD dst_unused:UNUSED_PAD src0_sel:DWORD src1_sel:WORD_1
	;; [unrolled: 1-line block ×3, first 2 shown]
	v_fma_f16 v26, v26, v24, -v62
	v_fma_f16 v24, v58, v24, v63
	v_pack_b32_f16 v24, v26, v24
	v_pack_b32_f16 v26, v27, v30
	ds_write2_b32 v34, v24, v26 offset1:99
	ds_read2_b32 v[26:27], v52 offset0:140 offset1:239
	v_mul_f16_sdwa v66, v60, v31 dst_sel:DWORD dst_unused:UNUSED_PAD src0_sel:DWORD src1_sel:WORD_1
	v_mul_f16_sdwa v67, v28, v31 dst_sel:DWORD dst_unused:UNUSED_PAD src0_sel:DWORD src1_sel:WORD_1
	v_fma_f16 v24, v29, v32, -v68
	v_mul_f16_sdwa v29, v29, v32 dst_sel:DWORD dst_unused:UNUSED_PAD src0_sel:DWORD src1_sel:WORD_1
	v_fma_f16 v28, v28, v31, -v66
	v_fma_f16 v31, v60, v31, v67
	v_fma_f16 v29, v61, v32, v29
	v_pack_b32_f16 v28, v28, v31
	v_pack_b32_f16 v24, v24, v29
	ds_write2_b32 v53, v28, v24 offset0:70 offset1:169
	s_waitcnt lgkmcnt(1)
	v_lshrrev_b32_e32 v24, 16, v26
	s_waitcnt vmcnt(4)
	v_mul_f16_sdwa v28, v24, v33 dst_sel:DWORD dst_unused:UNUSED_PAD src0_sel:DWORD src1_sel:WORD_1
	v_fma_f16 v28, v26, v33, -v28
	v_mul_f16_sdwa v26, v26, v33 dst_sel:DWORD dst_unused:UNUSED_PAD src0_sel:DWORD src1_sel:WORD_1
	v_fma_f16 v24, v24, v33, v26
	v_lshrrev_b32_e32 v26, 16, v27
	v_pack_b32_f16 v24, v28, v24
	s_waitcnt vmcnt(3)
	v_mul_f16_sdwa v28, v26, v54 dst_sel:DWORD dst_unused:UNUSED_PAD src0_sel:DWORD src1_sel:WORD_1
	v_fma_f16 v30, v27, v54, -v28
	ds_read2_b32 v[28:29], v51 offset0:82 offset1:181
	v_mul_f16_sdwa v27, v27, v54 dst_sel:DWORD dst_unused:UNUSED_PAD src0_sel:DWORD src1_sel:WORD_1
	v_fma_f16 v26, v26, v54, v27
	v_pack_b32_f16 v26, v30, v26
	ds_write2_b32 v52, v24, v26 offset0:140 offset1:239
	s_waitcnt lgkmcnt(1)
	v_lshrrev_b32_e32 v24, 16, v28
	s_waitcnt vmcnt(2)
	v_mul_f16_sdwa v26, v24, v55 dst_sel:DWORD dst_unused:UNUSED_PAD src0_sel:DWORD src1_sel:WORD_1
	v_mul_f16_sdwa v27, v28, v55 dst_sel:DWORD dst_unused:UNUSED_PAD src0_sel:DWORD src1_sel:WORD_1
	v_fma_f16 v26, v28, v55, -v26
	v_fma_f16 v24, v24, v55, v27
	v_pack_b32_f16 v24, v26, v24
	v_lshrrev_b32_e32 v26, 16, v29
	ds_read_b32 v28, v34 offset:3168
	s_waitcnt vmcnt(1)
	v_mul_f16_sdwa v27, v26, v56 dst_sel:DWORD dst_unused:UNUSED_PAD src0_sel:DWORD src1_sel:WORD_1
	v_fma_f16 v27, v29, v56, -v27
	v_mul_f16_sdwa v29, v29, v56 dst_sel:DWORD dst_unused:UNUSED_PAD src0_sel:DWORD src1_sel:WORD_1
	v_fma_f16 v26, v26, v56, v29
	v_pack_b32_f16 v26, v27, v26
	ds_write2_b32 v51, v24, v26 offset0:82 offset1:181
	s_waitcnt lgkmcnt(1)
	v_lshrrev_b32_e32 v24, 16, v28
	s_waitcnt vmcnt(0)
	v_mul_f16_sdwa v26, v24, v57 dst_sel:DWORD dst_unused:UNUSED_PAD src0_sel:DWORD src1_sel:WORD_1
	v_mul_f16_sdwa v27, v28, v57 dst_sel:DWORD dst_unused:UNUSED_PAD src0_sel:DWORD src1_sel:WORD_1
	v_fma_f16 v26, v28, v57, -v26
	v_fma_f16 v24, v24, v57, v27
	v_pack_b32_f16 v24, v26, v24
	ds_write_b32 v34, v24 offset:3168
	s_waitcnt lgkmcnt(0)
	s_barrier
	ds_read2_b32 v[28:29], v34 offset1:99
	ds_read2_b32 v[30:31], v53 offset0:70 offset1:169
	ds_read_b32 v24, v34 offset:3168
	ds_read2_b32 v[32:33], v51 offset0:82 offset1:181
	ds_read2_b32 v[54:55], v52 offset0:140 offset1:239
	s_waitcnt lgkmcnt(4)
	v_lshrrev_b32_e32 v27, 16, v28
	s_waitcnt lgkmcnt(0)
	v_pk_add_f16 v53, v29, v24
	v_pk_add_f16 v57, v30, v33
	v_pk_add_f16 v65, v29, v24 neg_lo:[0,1] neg_hi:[0,1]
	v_pk_add_f16 v59, v31, v32
	v_lshrrev_b32_e32 v60, 16, v53
	v_lshrrev_b32_e32 v58, 16, v57
	v_pk_add_f16 v66, v30, v33 neg_lo:[0,1] neg_hi:[0,1]
	v_pk_add_f16 v29, v31, v32 neg_lo:[0,1] neg_hi:[0,1]
	v_lshrrev_b32_e32 v32, 16, v65
	v_fma_f16 v56, v60, s3, v27
	v_fma_f16 v64, v58, s3, v27
	v_mul_f16_e32 v24, 0x3924, v65
	v_mul_f16_e32 v27, 0x3924, v32
	v_lshrrev_b32_e32 v33, 16, v66
	v_pk_mul_f16 v31, v29, s12 op_sel_hi:[1,0]
	v_fma_f16 v24, v66, s9, v24
	v_fma_f16 v27, v33, s9, v27
	v_pk_add_f16 v67, v54, v55 neg_lo:[0,1] neg_hi:[0,1]
	v_fma_f16 v26, v53, s3, v28
	v_pk_add_f16 v62, v57, v53
	v_add_f16_e32 v24, v31, v24
	v_add_f16_sdwa v27, v31, v27 dst_sel:DWORD dst_unused:UNUSED_PAD src0_sel:WORD_1 src1_sel:DWORD
	v_lshrrev_b32_e32 v68, 16, v67
	v_fma_f16 v61, v57, s8, v26
	v_pk_add_f16 v26, v59, v62
	v_fma_f16 v30, v67, s10, v24
	v_fma_f16 v24, v68, s10, v27
	v_pk_mul_f16 v69, v59, 0.5 op_sel_hi:[1,0]
	v_mul_f16_e32 v71, 0x3be1, v67
	v_mul_f16_e32 v68, 0x3be1, v68
	v_fma_f16 v56, v58, s8, v56
	v_pk_add_f16 v26, v54, v26
	v_sub_f16_e32 v27, v61, v69
	v_pk_add_f16 v61, v54, v55
	v_fma_f16 v71, v66, s13, -v71
	v_fma_f16 v33, v33, s13, -v68
	v_pk_add_f16 v26, v55, v26
	v_fma_f16 v63, v57, s3, v28
	v_sub_f16_sdwa v56, v56, v69 dst_sel:DWORD dst_unused:UNUSED_PAD src0_sel:DWORD src1_sel:WORD_1
	v_lshrrev_b32_e32 v55, 16, v61
	v_add_f16_e32 v68, v31, v71
	v_add_f16_sdwa v31, v31, v33 dst_sel:DWORD dst_unused:UNUSED_PAD src0_sel:WORD_1 src1_sel:DWORD
	v_fma_f16 v54, v55, s11, v56
	v_fma_f16 v31, v32, s10, v31
	;; [unrolled: 1-line block ×3, first 2 shown]
	v_add_f16_e32 v54, v30, v54
	v_fma_f16 v33, v55, s8, v64
	v_sub_f16_e32 v32, v32, v69
	v_fma_f16 v27, v61, s11, v27
	v_fma_f16 v56, v30, -2.0, v54
	v_pk_mul_f16 v30, v67, s13 op_sel_hi:[1,0]
	v_sub_f16_sdwa v33, v33, v69 dst_sel:DWORD dst_unused:UNUSED_PAD src0_sel:DWORD src1_sel:WORD_1
	v_fma_f16 v32, v53, s11, v32
	v_sub_f16_e32 v27, v27, v24
	v_pk_fma_f16 v30, v65, s9, v30 op_sel_hi:[1,0,1]
	v_fma_f16 v68, v65, s10, v68
	v_fma_f16 v33, v60, s11, v33
	v_sub_f16_e32 v32, v32, v31
	v_pk_add_f16 v26, v26, v28
	v_pk_fma_f16 v29, v29, s12, v30 op_sel_hi:[1,0,1] neg_lo:[1,0,0] neg_hi:[1,0,0]
	v_add_f16_e32 v55, v68, v33
	v_fma_f16 v33, v31, 2.0, v32
	v_pack_b32_f16 v31, v27, v54
	s_barrier
	v_pk_fma_f16 v58, v66, s10, v29 op_sel_hi:[1,0,1]
	v_pk_fma_f16 v29, v61, s3, v28 op_sel_hi:[1,0,1]
	ds_write2_b32 v46, v26, v31 offset1:1
	v_pk_add_f16 v31, v67, v65
	v_pk_fma_f16 v29, v53, s8, v29 op_sel_hi:[1,0,1]
	v_pk_add_f16 v31, v31, v66 neg_lo:[0,1] neg_hi:[0,1]
	v_pk_fma_f16 v29, v59, 0.5, v29 op_sel_hi:[1,0,1] neg_lo:[1,0,0] neg_hi:[1,0,0]
	v_pk_add_f16 v28, v59, v28
	v_pk_mul_f16 v59, v31, s12 op_sel_hi:[1,0]
	v_pk_add_f16 v31, v61, v62
	v_pk_fma_f16 v29, v57, s11, v29 op_sel_hi:[1,0,1]
	v_pk_fma_f16 v28, v31, 0.5, v28 op_sel_hi:[1,0,1] neg_lo:[1,0,0] neg_hi:[1,0,0]
	v_pk_add_f16 v30, v29, v58 op_sel:[0,1] op_sel_hi:[1,0] neg_lo:[0,1] neg_hi:[0,1]
	v_pk_add_f16 v57, v29, v58 op_sel:[0,1] op_sel_hi:[1,0]
	v_pk_add_f16 v31, v28, v59 op_sel:[0,1] op_sel_hi:[1,0] neg_lo:[0,1] neg_hi:[0,1]
	v_pk_add_f16 v60, v28, v59 op_sel:[0,1] op_sel_hi:[1,0]
	v_bfi_b32 v70, s2, v30, v57
	v_lshrrev_b32_e32 v29, 16, v58
	v_lshrrev_b32_e32 v57, 16, v57
	v_fma_f16 v53, v68, -2.0, v55
	v_bfi_b32 v61, s2, v31, v60
	v_lshrrev_b32_e32 v28, 16, v59
	v_lshrrev_b32_e32 v60, 16, v60
	v_fma_f16 v29, v29, 2.0, v30
	v_fma_f16 v58, v58, -2.0, v57
	v_fma_f16 v28, v28, 2.0, v31
	v_fma_f16 v59, v59, -2.0, v60
	ds_write2_b32 v46, v70, v61 offset0:2 offset1:3
	v_pack_b32_f16 v61, v32, v55
	v_pack_b32_f16 v62, v33, v53
	v_fma_f16 v24, v24, 2.0, v27
	ds_write2_b32 v46, v61, v62 offset0:4 offset1:5
	v_pack_b32_f16 v61, v28, v59
	v_pack_b32_f16 v62, v29, v58
	ds_write2_b32 v46, v61, v62 offset0:6 offset1:7
	v_pack_b32_f16 v61, v24, v56
	ds_write_b32 v46, v61 offset:32
	s_waitcnt lgkmcnt(0)
	s_barrier
	s_and_saveexec_b64 s[2:3], vcc
	s_cbranch_execz .LBB0_7
; %bb.6:
	v_add_u32_e32 v24, 0x600, v34
	ds_read2_b32 v[26:27], v34 offset1:81
	ds_read2_b32 v[30:31], v34 offset0:162 offset1:243
	ds_read2_b32 v[32:33], v52 offset0:68 offset1:149
	;; [unrolled: 1-line block ×4, first 2 shown]
	ds_read_b32 v48, v34 offset:3240
	s_waitcnt lgkmcnt(5)
	v_lshrrev_b32_e32 v54, 16, v27
	s_waitcnt lgkmcnt(4)
	v_lshrrev_b32_e32 v57, 16, v30
	v_lshrrev_b32_e32 v60, 16, v31
	s_waitcnt lgkmcnt(3)
	v_lshrrev_b32_e32 v55, 16, v32
	;; [unrolled: 3-line block ×5, first 2 shown]
.LBB0_7:
	s_or_b64 exec, exec, s[2:3]
	v_add_u32_e32 v46, 0x318, v34
	s_barrier
	s_and_saveexec_b64 s[2:3], vcc
	s_cbranch_execz .LBB0_9
; %bb.8:
	v_mul_f16_sdwa v51, v0, v54 dst_sel:DWORD dst_unused:UNUSED_PAD src0_sel:WORD_1 src1_sel:DWORD
	v_fma_f16 v51, v0, v27, v51
	v_mul_f16_sdwa v52, v13, v49 dst_sel:DWORD dst_unused:UNUSED_PAD src0_sel:WORD_1 src1_sel:DWORD
	v_mul_f16_sdwa v27, v0, v27 dst_sel:DWORD dst_unused:UNUSED_PAD src0_sel:WORD_1 src1_sel:DWORD
	v_fma_f16 v52, v13, v48, v52
	v_mul_f16_sdwa v48, v13, v48 dst_sel:DWORD dst_unused:UNUSED_PAD src0_sel:WORD_1 src1_sel:DWORD
	v_fma_f16 v0, v0, v54, -v27
	v_mul_f16_sdwa v54, v12, v47 dst_sel:DWORD dst_unused:UNUSED_PAD src0_sel:WORD_1 src1_sel:DWORD
	v_fma_f16 v13, v13, v49, -v48
	v_mul_f16_sdwa v49, v1, v57 dst_sel:DWORD dst_unused:UNUSED_PAD src0_sel:WORD_1 src1_sel:DWORD
	v_fma_f16 v54, v12, v25, v54
	v_mul_f16_sdwa v25, v12, v25 dst_sel:DWORD dst_unused:UNUSED_PAD src0_sel:WORD_1 src1_sel:DWORD
	v_sub_f16_e32 v61, v51, v52
	v_fma_f16 v49, v1, v30, v49
	v_fma_f16 v12, v12, v47, -v25
	v_mul_f16_sdwa v25, v1, v30 dst_sel:DWORD dst_unused:UNUSED_PAD src0_sel:WORD_1 src1_sel:DWORD
	v_mul_f16_e32 v62, 0xbbeb, v61
	v_add_f16_e32 v27, v13, v0
	s_mov_b32 s8, 0xb08e
	v_sub_f16_e32 v63, v49, v54
	v_fma_f16 v1, v1, v57, -v25
	v_fma_f16 v48, v27, s8, v62
	v_mul_f16_e32 v64, 0x3482, v63
	v_add_f16_e32 v25, v12, v1
	s_mov_b32 s10, 0xbbad
	v_add_f16_sdwa v48, v26, v48 dst_sel:DWORD dst_unused:UNUSED_PAD src0_sel:WORD_1 src1_sel:DWORD
	v_fma_f16 v30, v25, s10, v64
	v_add_f16_e32 v30, v30, v48
	v_mul_f16_sdwa v48, v7, v56 dst_sel:DWORD dst_unused:UNUSED_PAD src0_sel:WORD_1 src1_sel:DWORD
	v_mul_f16_sdwa v47, v2, v60 dst_sel:DWORD dst_unused:UNUSED_PAD src0_sel:WORD_1 src1_sel:DWORD
	v_fma_f16 v48, v7, v24, v48
	v_mul_f16_sdwa v24, v7, v24 dst_sel:DWORD dst_unused:UNUSED_PAD src0_sel:WORD_1 src1_sel:DWORD
	v_fma_f16 v47, v2, v31, v47
	v_fma_f16 v7, v7, v56, -v24
	v_mul_f16_sdwa v24, v2, v31 dst_sel:DWORD dst_unused:UNUSED_PAD src0_sel:WORD_1 src1_sel:DWORD
	v_sub_f16_e32 v57, v47, v48
	v_fma_f16 v2, v2, v60, -v24
	v_mul_f16_e32 v65, 0x3b47, v57
	v_add_f16_e32 v24, v7, v2
	s_movk_i32 s11, 0x36a6
	v_fma_f16 v31, v24, s11, v65
	v_mul_f16_sdwa v56, v6, v58 dst_sel:DWORD dst_unused:UNUSED_PAD src0_sel:WORD_1 src1_sel:DWORD
	v_add_f16_e32 v30, v31, v30
	v_mul_f16_sdwa v31, v3, v55 dst_sel:DWORD dst_unused:UNUSED_PAD src0_sel:WORD_1 src1_sel:DWORD
	v_fma_f16 v56, v6, v29, v56
	v_mul_f16_sdwa v29, v6, v29 dst_sel:DWORD dst_unused:UNUSED_PAD src0_sel:WORD_1 src1_sel:DWORD
	v_fma_f16 v31, v3, v32, v31
	v_fma_f16 v6, v6, v58, -v29
	v_mul_f16_sdwa v29, v3, v32 dst_sel:DWORD dst_unused:UNUSED_PAD src0_sel:WORD_1 src1_sel:DWORD
	v_sub_f16_e32 v60, v31, v56
	v_fma_f16 v3, v3, v55, -v29
	v_mul_f16_e32 v66, 0xb853, v60
	v_add_f16_e32 v29, v6, v3
	s_movk_i32 s13, 0x3abb
	v_fma_f16 v32, v29, s13, v66
	v_mul_f16_sdwa v55, v5, v59 dst_sel:DWORD dst_unused:UNUSED_PAD src0_sel:WORD_1 src1_sel:DWORD
	v_add_f16_e32 v30, v32, v30
	v_mul_f16_sdwa v32, v4, v53 dst_sel:DWORD dst_unused:UNUSED_PAD src0_sel:WORD_1 src1_sel:DWORD
	v_fma_f16 v55, v5, v28, v55
	v_mul_f16_sdwa v28, v5, v28 dst_sel:DWORD dst_unused:UNUSED_PAD src0_sel:WORD_1 src1_sel:DWORD
	v_fma_f16 v32, v4, v33, v32
	v_fma_f16 v5, v5, v59, -v28
	v_mul_f16_sdwa v28, v4, v33 dst_sel:DWORD dst_unused:UNUSED_PAD src0_sel:WORD_1 src1_sel:DWORD
	v_sub_f16_e32 v58, v32, v55
	v_fma_f16 v4, v4, v53, -v28
	v_mul_f16_e32 v67, 0xba0c, v58
	v_add_f16_e32 v28, v5, v4
	s_mov_b32 s15, 0xb93d
	v_fma_f16 v33, v28, s15, v67
	v_sub_f16_e32 v53, v0, v13
	v_add_f16_e32 v30, v33, v30
	v_add_f16_e32 v33, v52, v51
	v_mul_f16_e32 v59, 0xbbeb, v53
	v_sub_f16_e32 v70, v1, v12
	v_fma_f16 v68, v33, s8, -v59
	v_add_f16_e32 v69, v54, v49
	v_mul_f16_e32 v71, 0x3482, v70
	v_add_f16_e32 v68, v26, v68
	v_fma_f16 v72, v69, s10, -v71
	v_sub_f16_e32 v73, v2, v7
	v_add_f16_e32 v68, v72, v68
	v_add_f16_e32 v72, v48, v47
	v_mul_f16_e32 v74, 0x3b47, v73
	v_fma_f16 v75, v72, s11, -v74
	v_sub_f16_e32 v76, v3, v6
	v_add_f16_e32 v68, v75, v68
	v_add_f16_e32 v75, v56, v31
	v_mul_f16_e32 v77, 0xb853, v76
	;; [unrolled: 5-line block ×3, first 2 shown]
	v_fma_f16 v81, v78, s15, -v80
	v_fma_f16 v62, v27, s8, -v62
	v_add_f16_e32 v68, v81, v68
	v_mul_f16_e32 v81, 0xba0c, v61
	v_add_f16_sdwa v62, v26, v62 dst_sel:DWORD dst_unused:UNUSED_PAD src0_sel:WORD_1 src1_sel:DWORD
	v_fma_f16 v64, v25, s10, -v64
	v_fma_f16 v82, v27, s15, v81
	v_mul_f16_e32 v83, 0x3beb, v63
	v_add_f16_e32 v62, v64, v62
	v_fma_f16 v64, v24, s11, -v65
	v_add_f16_sdwa v82, v26, v82 dst_sel:DWORD dst_unused:UNUSED_PAD src0_sel:WORD_1 src1_sel:DWORD
	v_fma_f16 v84, v25, s8, v83
	v_add_f16_e32 v62, v64, v62
	v_fma_f16 v64, v29, s13, -v66
	v_add_f16_e32 v82, v84, v82
	v_mul_f16_e32 v84, 0xb853, v57
	v_add_f16_e32 v62, v64, v62
	v_fma_f16 v64, v28, s15, -v67
	v_fma_f16 v59, v33, s8, v59
	v_fma_f16 v85, v24, s13, v84
	v_add_f16_e32 v62, v64, v62
	v_add_f16_e32 v59, v26, v59
	v_fma_f16 v64, v69, s10, v71
	v_add_f16_e32 v82, v85, v82
	v_mul_f16_e32 v85, 0xb482, v60
	v_add_f16_e32 v59, v64, v59
	v_fma_f16 v64, v72, s11, v74
	v_fma_f16 v86, v29, s10, v85
	v_add_f16_e32 v59, v64, v59
	v_fma_f16 v64, v75, s13, v77
	v_add_f16_e32 v82, v86, v82
	v_mul_f16_e32 v86, 0x3b47, v58
	v_add_f16_e32 v59, v64, v59
	v_fma_f16 v64, v78, s15, v80
	s_movk_i32 s17, 0x3b47
	v_fma_f16 v87, v28, s11, v86
	v_fma_f16 v81, v27, s15, -v81
	v_add_f16_e32 v59, v64, v59
	v_mul_f16_e32 v64, 0x36a6, v27
	v_add_f16_e32 v82, v87, v82
	v_mul_f16_e32 v87, 0xba0c, v53
	v_add_f16_sdwa v81, v26, v81 dst_sel:DWORD dst_unused:UNUSED_PAD src0_sel:WORD_1 src1_sel:DWORD
	v_fma_f16 v83, v25, s8, -v83
	v_fma_f16 v65, v61, s17, v64
	v_mul_f16_e32 v66, 0xb93d, v25
	s_movk_i32 s21, 0x3a0c
	v_fma_f16 v88, v33, s15, -v87
	v_mul_f16_e32 v89, 0x3beb, v70
	v_add_f16_e32 v81, v83, v81
	v_fma_f16 v83, v24, s13, -v84
	v_add_f16_sdwa v65, v26, v65 dst_sel:DWORD dst_unused:UNUSED_PAD src0_sel:WORD_1 src1_sel:DWORD
	v_fma_f16 v67, v63, s21, v66
	s_mov_b32 s18, 0xb482
	v_add_f16_e32 v88, v26, v88
	v_fma_f16 v90, v69, s8, -v89
	v_add_f16_e32 v81, v83, v81
	v_fma_f16 v83, v29, s10, -v85
	v_add_f16_e32 v65, v67, v65
	v_mul_f16_e32 v67, 0xbbad, v24
	v_add_f16_e32 v88, v90, v88
	v_mul_f16_e32 v90, 0xb853, v73
	v_add_f16_e32 v81, v83, v81
	v_fma_f16 v83, v28, s11, -v86
	v_fma_f16 v71, v57, s18, v67
	s_mov_b32 s9, 0xbbeb
	v_fma_f16 v91, v72, s13, -v90
	v_add_f16_e32 v81, v83, v81
	v_fma_f16 v83, v33, s15, v87
	v_add_f16_e32 v65, v71, v65
	v_mul_f16_e32 v71, 0xb08e, v29
	v_add_f16_e32 v88, v91, v88
	v_mul_f16_e32 v91, 0xb482, v76
	v_add_f16_e32 v83, v26, v83
	v_fma_f16 v84, v69, s8, v89
	v_fma_f16 v74, v60, s9, v71
	s_mov_b32 s14, 0xb853
	v_fma_f16 v92, v75, s10, -v91
	v_add_f16_e32 v83, v84, v83
	v_fma_f16 v84, v72, s13, v90
	v_add_f16_e32 v65, v74, v65
	v_mul_f16_e32 v74, 0x3abb, v28
	s_mov_b32 s22, 0xbb47
	v_add_f16_sdwa v0, v0, v26 dst_sel:DWORD dst_unused:UNUSED_PAD src0_sel:DWORD src1_sel:WORD_1
	s_mov_b32 s16, 0xba0c
	v_add_f16_e32 v88, v92, v88
	v_mul_f16_e32 v92, 0x3b47, v79
	v_add_f16_e32 v83, v84, v83
	v_fma_f16 v84, v75, s10, v91
	v_fma_f16 v77, v58, s14, v74
	v_add_f16_e32 v0, v1, v0
	v_fma_f16 v1, v61, s22, v64
	s_movk_i32 s12, 0x3482
	v_fma_f16 v93, v78, s11, -v92
	v_add_f16_e32 v83, v84, v83
	v_fma_f16 v84, v78, s11, v92
	v_add_f16_e32 v65, v77, v65
	v_mul_f16_e32 v77, 0xbb47, v53
	v_add_f16_e32 v0, v2, v0
	v_add_f16_sdwa v1, v26, v1 dst_sel:DWORD dst_unused:UNUSED_PAD src0_sel:WORD_1 src1_sel:DWORD
	v_fma_f16 v2, v63, s16, v66
	s_movk_i32 s19, 0x3beb
	v_add_f16_e32 v88, v93, v88
	v_mul_f16_e32 v93, 0xb482, v61
	v_add_f16_e32 v83, v84, v83
	v_fma_f16 v80, v33, s11, v77
	v_mul_f16_e32 v84, 0xba0c, v70
	v_add_f16_e32 v1, v2, v1
	v_fma_f16 v2, v57, s12, v67
	v_fma_f16 v94, v27, s10, v93
	s_movk_i32 s20, 0x3853
	v_mul_f16_e32 v95, 0x3853, v63
	v_add_f16_e32 v80, v26, v80
	v_fma_f16 v85, v69, s15, v84
	v_add_f16_e32 v1, v2, v1
	v_fma_f16 v2, v60, s19, v71
	v_add_f16_sdwa v94, v26, v94 dst_sel:DWORD dst_unused:UNUSED_PAD src0_sel:WORD_1 src1_sel:DWORD
	v_fma_f16 v96, v25, s13, v95
	v_add_f16_e32 v80, v85, v80
	v_mul_f16_e32 v85, 0x3482, v73
	v_add_f16_e32 v1, v2, v1
	v_fma_f16 v2, v58, s20, v74
	v_add_f16_e32 v94, v96, v94
	v_mul_f16_e32 v96, 0xba0c, v57
	v_fma_f16 v86, v72, s10, v85
	v_add_f16_e32 v1, v2, v1
	v_fma_f16 v2, v33, s11, -v77
	v_fma_f16 v97, v24, s15, v96
	v_add_f16_e32 v80, v86, v80
	v_mul_f16_e32 v86, 0x3beb, v76
	v_add_f16_e32 v0, v3, v0
	v_add_f16_e32 v2, v26, v2
	v_fma_f16 v3, v69, s15, -v84
	v_add_f16_e32 v94, v97, v94
	v_mul_f16_e32 v97, 0x3b47, v60
	v_fma_f16 v87, v75, s8, v86
	v_add_f16_e32 v2, v3, v2
	v_fma_f16 v3, v72, s10, -v85
	v_fma_f16 v98, v29, s11, v97
	v_add_f16_e32 v80, v87, v80
	v_mul_f16_e32 v87, 0x3853, v79
	v_add_f16_e32 v2, v3, v2
	v_fma_f16 v3, v75, s8, -v86
	v_add_f16_e32 v94, v98, v94
	v_mul_f16_e32 v98, 0xbbeb, v58
	v_fma_f16 v93, v27, s10, -v93
	v_mul_f16_e32 v27, 0x3abb, v27
	v_add_f16_e32 v2, v3, v2
	v_fma_f16 v3, v78, s13, -v87
	v_fma_f16 v99, v28, s8, v98
	v_add_f16_sdwa v93, v26, v93 dst_sel:DWORD dst_unused:UNUSED_PAD src0_sel:WORD_1 src1_sel:DWORD
	v_fma_f16 v95, v25, s13, -v95
	v_fma_f16 v89, v78, s13, v87
	v_mul_f16_e32 v25, 0x36a6, v25
	v_add_f16_e32 v2, v3, v2
	v_fma_f16 v3, v61, s14, v27
	v_add_f16_e32 v94, v99, v94
	v_mul_f16_e32 v99, 0xb482, v53
	v_add_f16_e32 v93, v95, v93
	v_fma_f16 v95, v24, s15, -v96
	v_add_f16_e32 v80, v89, v80
	v_fma_f16 v89, v61, s20, v27
	v_mul_f16_e32 v24, 0xb08e, v24
	v_add_f16_e32 v0, v4, v0
	v_add_f16_sdwa v3, v26, v3 dst_sel:DWORD dst_unused:UNUSED_PAD src0_sel:WORD_1 src1_sel:DWORD
	v_fma_f16 v4, v63, s22, v25
	v_fma_f16 v100, v33, s10, -v99
	v_mul_f16_e32 v101, 0x3853, v70
	v_add_f16_e32 v93, v95, v93
	v_fma_f16 v95, v29, s11, -v97
	v_add_f16_sdwa v89, v26, v89 dst_sel:DWORD dst_unused:UNUSED_PAD src0_sel:WORD_1 src1_sel:DWORD
	v_fma_f16 v90, v63, s17, v25
	v_mul_f16_e32 v29, 0xb93d, v29
	v_add_f16_e32 v51, v26, v51
	v_add_f16_e32 v3, v4, v3
	v_fma_f16 v4, v57, s9, v24
	v_add_f16_e32 v100, v26, v100
	v_fma_f16 v102, v69, s13, -v101
	v_add_f16_e32 v93, v95, v93
	v_fma_f16 v95, v28, s8, -v98
	v_add_f16_e32 v89, v90, v89
	v_fma_f16 v90, v57, s19, v24
	v_mul_f16_e32 v28, 0xbbad, v28
	v_add_f16_e32 v49, v49, v51
	v_add_f16_e32 v3, v4, v3
	v_fma_f16 v4, v60, s16, v29
	v_add_f16_e32 v100, v102, v100
	v_mul_f16_e32 v102, 0xba0c, v73
	v_add_f16_e32 v89, v90, v89
	v_fma_f16 v90, v60, s21, v29
	v_mul_f16_e32 v53, 0xb853, v53
	v_add_f16_e32 v47, v47, v49
	v_add_f16_e32 v3, v4, v3
	v_fma_f16 v4, v58, s18, v28
	v_fma_f16 v103, v72, s15, -v102
	v_add_f16_e32 v89, v90, v89
	v_fma_f16 v90, v58, s12, v28
	v_mul_f16_e32 v70, 0xbb47, v70
	v_add_f16_e32 v31, v31, v47
	v_add_f16_e32 v3, v4, v3
	v_fma_f16 v4, v33, s13, -v53
	v_add_f16_e32 v100, v103, v100
	v_mul_f16_e32 v103, 0x3b47, v76
	v_add_f16_e32 v89, v90, v89
	v_fma_f16 v90, v33, s13, v53
	v_mul_f16_e32 v73, 0xbbeb, v73
	v_add_f16_e32 v31, v32, v31
	v_add_f16_e32 v0, v5, v0
	;; [unrolled: 1-line block ×3, first 2 shown]
	v_fma_f16 v5, v69, s11, -v70
	v_fma_f16 v104, v75, s11, -v103
	v_add_f16_e32 v90, v26, v90
	v_fma_f16 v91, v69, s11, v70
	v_mul_f16_e32 v76, 0xba0c, v76
	v_add_f16_e32 v31, v55, v31
	v_add_f16_e32 v4, v5, v4
	v_fma_f16 v5, v72, s8, -v73
	v_add_f16_e32 v100, v104, v100
	v_mul_f16_e32 v104, 0xbbeb, v79
	v_add_f16_e32 v93, v95, v93
	v_fma_f16 v95, v33, s10, v99
	v_add_f16_e32 v90, v91, v90
	v_fma_f16 v91, v72, s8, v73
	v_mul_f16_e32 v79, 0xb482, v79
	v_add_f16_e32 v31, v56, v31
	v_add_f16_e32 v0, v6, v0
	;; [unrolled: 1-line block ×3, first 2 shown]
	v_fma_f16 v5, v75, s15, -v76
	v_add_f16_e32 v95, v26, v95
	v_fma_f16 v96, v69, s13, v101
	v_add_f16_e32 v90, v91, v90
	v_fma_f16 v91, v75, s15, v76
	v_add_f16_e32 v31, v48, v31
	v_add_f16_e32 v0, v7, v0
	;; [unrolled: 1-line block ×3, first 2 shown]
	v_fma_f16 v5, v78, s10, -v79
	v_add_f16_e32 v95, v96, v95
	v_fma_f16 v96, v72, s15, v102
	v_add_f16_e32 v90, v91, v90
	v_fma_f16 v91, v78, s10, v79
	v_add_f16_e32 v31, v54, v31
	v_add_f16_e32 v0, v12, v0
	;; [unrolled: 1-line block ×3, first 2 shown]
	v_mul_u32_u24_e32 v5, 0x63, v44
	v_add_f16_e32 v95, v96, v95
	v_fma_f16 v96, v75, s11, v103
	v_add_f16_e32 v90, v91, v90
	v_add_f16_e32 v31, v52, v31
	;; [unrolled: 1-line block ×3, first 2 shown]
	v_add_u32_sdwa v5, v5, v45 dst_sel:DWORD dst_unused:UNUSED_PAD src0_sel:DWORD src1_sel:BYTE_0
	v_add_f16_e32 v95, v96, v95
	v_fma_f16 v96, v78, s8, v104
	v_lshl_add_u32 v5, v5, 2, v43
	v_pack_b32_f16 v0, v31, v0
	v_pack_b32_f16 v6, v90, v89
	v_fma_f16 v105, v78, s8, -v104
	v_add_f16_e32 v95, v96, v95
	ds_write2_b32 v5, v0, v6 offset1:9
	v_pack_b32_f16 v0, v80, v65
	v_pack_b32_f16 v6, v59, v62
	v_add_f16_e32 v100, v105, v100
	ds_write2_b32 v5, v0, v6 offset0:18 offset1:27
	v_pack_b32_f16 v0, v83, v81
	v_pack_b32_f16 v6, v95, v93
	ds_write2_b32 v5, v0, v6 offset0:36 offset1:45
	v_pack_b32_f16 v0, v100, v94
	v_pack_b32_f16 v6, v88, v82
	;; [unrolled: 3-line block ×3, first 2 shown]
	ds_write2_b32 v5, v0, v1 offset0:72 offset1:81
	v_pack_b32_f16 v0, v4, v3
	ds_write_b32 v5, v0 offset:360
.LBB0_9:
	s_or_b64 exec, exec, s[2:3]
	v_add_u32_e32 v26, 0x200, v34
	s_waitcnt lgkmcnt(0)
	s_barrier
	ds_read2_b32 v[6:7], v26 offset0:70 offset1:169
	v_add_u32_e32 v0, 0x800, v34
	ds_read2_b32 v[12:13], v0 offset0:82 offset1:181
	v_add_u32_e32 v3, 0x400, v34
	ds_read2_b32 v[24:25], v3 offset0:140 offset1:239
	s_waitcnt lgkmcnt(2)
	v_lshrrev_b32_e32 v2, 16, v7
	v_mul_f16_sdwa v44, v14, v2 dst_sel:DWORD dst_unused:UNUSED_PAD src0_sel:WORD_1 src1_sel:DWORD
	s_waitcnt lgkmcnt(1)
	v_lshrrev_b32_e32 v27, 16, v12
	v_fma_f16 v44, v14, v7, v44
	v_mul_f16_sdwa v7, v14, v7 dst_sel:DWORD dst_unused:UNUSED_PAD src0_sel:WORD_1 src1_sel:DWORD
	v_fma_f16 v2, v14, v2, -v7
	v_mul_f16_sdwa v7, v15, v27 dst_sel:DWORD dst_unused:UNUSED_PAD src0_sel:WORD_1 src1_sel:DWORD
	s_waitcnt lgkmcnt(0)
	v_lshrrev_b32_e32 v30, 16, v24
	v_fma_f16 v7, v15, v12, v7
	v_mul_f16_sdwa v12, v15, v12 dst_sel:DWORD dst_unused:UNUSED_PAD src0_sel:WORD_1 src1_sel:DWORD
	ds_read_b32 v29, v34 offset:3168
	v_fma_f16 v12, v15, v27, -v12
	v_mul_f16_sdwa v27, v14, v30 dst_sel:DWORD dst_unused:UNUSED_PAD src0_sel:WORD_1 src1_sel:DWORD
	v_lshrrev_b32_e32 v31, 16, v13
	v_fma_f16 v27, v14, v24, v27
	v_mul_f16_sdwa v24, v14, v24 dst_sel:DWORD dst_unused:UNUSED_PAD src0_sel:WORD_1 src1_sel:DWORD
	v_fma_f16 v14, v14, v30, -v24
	v_mul_f16_sdwa v24, v15, v31 dst_sel:DWORD dst_unused:UNUSED_PAD src0_sel:WORD_1 src1_sel:DWORD
	ds_read2_b32 v[4:5], v34 offset1:99
	v_lshrrev_b32_e32 v33, 16, v25
	v_fma_f16 v24, v15, v13, v24
	v_mul_f16_sdwa v13, v15, v13 dst_sel:DWORD dst_unused:UNUSED_PAD src0_sel:WORD_1 src1_sel:DWORD
	v_fma_f16 v13, v15, v31, -v13
	v_mul_f16_sdwa v15, v16, v33 dst_sel:DWORD dst_unused:UNUSED_PAD src0_sel:WORD_1 src1_sel:DWORD
	s_waitcnt lgkmcnt(1)
	v_lshrrev_b32_e32 v43, 16, v29
	v_fma_f16 v15, v16, v25, v15
	v_mul_f16_sdwa v25, v16, v25 dst_sel:DWORD dst_unused:UNUSED_PAD src0_sel:WORD_1 src1_sel:DWORD
	v_fma_f16 v16, v16, v33, -v25
	v_mul_f16_sdwa v25, v17, v43 dst_sel:DWORD dst_unused:UNUSED_PAD src0_sel:WORD_1 src1_sel:DWORD
	v_fma_f16 v25, v17, v29, v25
	v_mul_f16_sdwa v29, v17, v29 dst_sel:DWORD dst_unused:UNUSED_PAD src0_sel:WORD_1 src1_sel:DWORD
	v_add_f16_e32 v30, v44, v7
	s_waitcnt lgkmcnt(0)
	v_lshrrev_b32_e32 v1, 16, v4
	v_fma_f16 v17, v17, v43, -v29
	v_add_f16_e32 v29, v4, v44
	v_fma_f16 v4, v30, -0.5, v4
	v_sub_f16_e32 v30, v2, v12
	s_mov_b32 s2, 0xbaee
	s_movk_i32 s3, 0x3aee
	v_fma_f16 v31, v30, s2, v4
	v_fma_f16 v4, v30, s3, v4
	v_add_f16_e32 v30, v1, v2
	v_add_f16_e32 v2, v2, v12
	;; [unrolled: 1-line block ×3, first 2 shown]
	v_fma_f16 v1, v2, -0.5, v1
	v_sub_f16_e32 v2, v44, v7
	v_add_f16_e32 v12, v27, v24
	v_lshrrev_b32_e32 v28, 16, v5
	v_add_f16_e32 v29, v29, v7
	v_fma_f16 v7, v2, s3, v1
	v_fma_f16 v1, v2, s2, v1
	v_add_f16_e32 v2, v5, v27
	v_fma_f16 v5, v12, -0.5, v5
	v_sub_f16_e32 v12, v14, v13
	v_fma_f16 v33, v12, s2, v5
	v_fma_f16 v5, v12, s3, v5
	v_add_f16_e32 v12, v28, v14
	v_add_f16_e32 v12, v12, v13
	;; [unrolled: 1-line block ×3, first 2 shown]
	v_fma_f16 v13, v13, -0.5, v28
	v_sub_f16_e32 v14, v27, v24
	v_add_f16_e32 v27, v15, v25
	v_lshrrev_b32_e32 v32, 16, v6
	v_add_f16_e32 v2, v2, v24
	v_fma_f16 v24, v14, s3, v13
	v_fma_f16 v13, v14, s2, v13
	v_add_f16_e32 v14, v6, v15
	v_fma_f16 v6, v27, -0.5, v6
	v_sub_f16_e32 v27, v16, v17
	v_fma_f16 v28, v27, s2, v6
	v_fma_f16 v6, v27, s3, v6
	v_add_f16_e32 v27, v32, v16
	v_add_f16_e32 v16, v16, v17
	v_fma_f16 v16, v16, -0.5, v32
	v_sub_f16_e32 v15, v15, v25
	v_pack_b32_f16 v1, v4, v1
	v_pack_b32_f16 v2, v2, v12
	v_add_f16_e32 v14, v14, v25
	v_add_f16_e32 v27, v27, v17
	v_fma_f16 v17, v15, s3, v16
	s_barrier
	ds_write2_b32 v26, v1, v2 offset0:70 offset1:169
	v_pack_b32_f16 v1, v33, v24
	v_pack_b32_f16 v2, v5, v13
	v_fma_f16 v15, v15, s2, v16
	v_pack_b32_f16 v16, v29, v30
	v_pack_b32_f16 v7, v31, v7
	ds_write2_b32 v3, v1, v2 offset0:140 offset1:239
	v_pack_b32_f16 v1, v14, v27
	v_pack_b32_f16 v2, v28, v17
	v_add_u32_e32 v4, 0x800, v9
	ds_write2_b32 v34, v16, v7 offset1:99
	ds_write2_b32 v4, v1, v2 offset0:82 offset1:181
	v_pack_b32_f16 v1, v6, v15
	ds_write_b32 v9, v1 offset:3168
	s_waitcnt lgkmcnt(0)
	s_barrier
	ds_read2_b32 v[4:5], v34 offset1:99
	ds_read2_b32 v[6:7], v26 offset0:70 offset1:169
	ds_read2_b32 v[12:13], v0 offset0:82 offset1:181
	;; [unrolled: 1-line block ×3, first 2 shown]
	ds_read_b32 v24, v34 offset:3168
	s_waitcnt lgkmcnt(4)
	v_lshrrev_b32_e32 v1, 16, v4
	s_waitcnt lgkmcnt(3)
	v_lshrrev_b32_e32 v2, 16, v7
	v_mul_f16_sdwa v31, v18, v2 dst_sel:DWORD dst_unused:UNUSED_PAD src0_sel:WORD_1 src1_sel:DWORD
	s_waitcnt lgkmcnt(2)
	v_lshrrev_b32_e32 v9, 16, v12
	v_fma_f16 v31, v18, v7, v31
	v_mul_f16_sdwa v7, v18, v7 dst_sel:DWORD dst_unused:UNUSED_PAD src0_sel:WORD_1 src1_sel:DWORD
	v_fma_f16 v2, v18, v2, -v7
	v_mul_f16_sdwa v7, v19, v9 dst_sel:DWORD dst_unused:UNUSED_PAD src0_sel:WORD_1 src1_sel:DWORD
	s_waitcnt lgkmcnt(1)
	v_lshrrev_b32_e32 v25, 16, v16
	v_lshrrev_b32_e32 v27, 16, v13
	v_fma_f16 v7, v19, v12, v7
	v_mul_f16_sdwa v12, v19, v12 dst_sel:DWORD dst_unused:UNUSED_PAD src0_sel:WORD_1 src1_sel:DWORD
	v_fma_f16 v9, v19, v9, -v12
	v_mul_f16_sdwa v12, v20, v25 dst_sel:DWORD dst_unused:UNUSED_PAD src0_sel:WORD_1 src1_sel:DWORD
	v_mul_f16_sdwa v18, v21, v27 dst_sel:DWORD dst_unused:UNUSED_PAD src0_sel:WORD_1 src1_sel:DWORD
	v_lshrrev_b32_e32 v29, 16, v17
	s_waitcnt lgkmcnt(0)
	v_lshrrev_b32_e32 v30, 16, v24
	v_fma_f16 v12, v20, v16, v12
	v_mul_f16_sdwa v16, v20, v16 dst_sel:DWORD dst_unused:UNUSED_PAD src0_sel:WORD_1 src1_sel:DWORD
	v_fma_f16 v18, v21, v13, v18
	v_mul_f16_sdwa v13, v21, v13 dst_sel:DWORD dst_unused:UNUSED_PAD src0_sel:WORD_1 src1_sel:DWORD
	v_fma_f16 v16, v20, v25, -v16
	v_fma_f16 v13, v21, v27, -v13
	v_mul_f16_sdwa v19, v22, v29 dst_sel:DWORD dst_unused:UNUSED_PAD src0_sel:WORD_1 src1_sel:DWORD
	v_mul_f16_sdwa v20, v23, v30 dst_sel:DWORD dst_unused:UNUSED_PAD src0_sel:WORD_1 src1_sel:DWORD
	;; [unrolled: 1-line block ×3, first 2 shown]
	v_fma_f16 v19, v22, v17, v19
	v_mul_f16_sdwa v17, v22, v17 dst_sel:DWORD dst_unused:UNUSED_PAD src0_sel:WORD_1 src1_sel:DWORD
	v_fma_f16 v20, v23, v24, v20
	v_fma_f16 v21, v23, v30, -v21
	v_add_f16_e32 v23, v31, v7
	v_fma_f16 v17, v22, v29, -v17
	v_add_f16_e32 v22, v4, v31
	v_fma_f16 v4, v23, -0.5, v4
	v_sub_f16_e32 v23, v2, v9
	v_fma_f16 v24, v23, s2, v4
	v_fma_f16 v4, v23, s3, v4
	v_add_f16_e32 v23, v1, v2
	v_add_f16_e32 v2, v2, v9
	;; [unrolled: 1-line block ×3, first 2 shown]
	v_fma_f16 v1, v2, -0.5, v1
	v_sub_f16_e32 v2, v31, v7
	v_add_f16_e32 v9, v12, v18
	v_lshrrev_b32_e32 v15, 16, v5
	v_add_f16_e32 v22, v22, v7
	v_fma_f16 v7, v2, s3, v1
	v_fma_f16 v1, v2, s2, v1
	v_add_f16_e32 v2, v5, v12
	v_fma_f16 v5, v9, -0.5, v5
	v_sub_f16_e32 v9, v16, v13
	v_fma_f16 v25, v9, s2, v5
	v_fma_f16 v5, v9, s3, v5
	v_add_f16_e32 v9, v15, v16
	v_add_f16_e32 v9, v9, v13
	;; [unrolled: 1-line block ×3, first 2 shown]
	v_fma_f16 v13, v13, -0.5, v15
	v_sub_f16_e32 v12, v12, v18
	v_add_f16_e32 v16, v19, v20
	v_lshrrev_b32_e32 v28, 16, v6
	v_fma_f16 v15, v12, s3, v13
	v_fma_f16 v12, v12, s2, v13
	v_add_f16_e32 v13, v6, v19
	v_fma_f16 v6, v16, -0.5, v6
	v_sub_f16_e32 v16, v17, v21
	v_add_f16_e32 v2, v2, v18
	v_fma_f16 v18, v16, s2, v6
	v_fma_f16 v6, v16, s3, v6
	v_add_f16_e32 v16, v28, v17
	v_add_f16_e32 v17, v17, v21
	v_fma_f16 v17, v17, -0.5, v28
	v_sub_f16_e32 v19, v19, v20
	v_pack_b32_f16 v1, v4, v1
	v_add_f16_e32 v13, v13, v20
	v_fma_f16 v20, v19, s3, v17
	v_fma_f16 v17, v19, s2, v17
	v_pack_b32_f16 v19, v22, v23
	ds_write_b32 v34, v1 offset:2376
	v_pack_b32_f16 v1, v2, v9
	v_pack_b32_f16 v7, v24, v7
	ds_write2_b32 v34, v19, v1 offset1:99
	v_pack_b32_f16 v1, v25, v15
	v_add_f16_e32 v16, v16, v21
	ds_write_b32 v34, v7 offset:1188
	ds_write_b32 v50, v1 offset:1584
	v_pack_b32_f16 v1, v5, v12
	ds_write_b32 v50, v1 offset:2772
	v_pack_b32_f16 v1, v13, v16
	;; [unrolled: 2-line block ×4, first 2 shown]
	ds_write_b32 v46, v1 offset:2376
	s_waitcnt lgkmcnt(0)
	s_barrier
	ds_read2_b32 v[4:5], v34 offset1:99
	v_mov_b32_e32 v14, s0
	v_mov_b32_e32 v15, s1
	v_mad_u64_u32 v[6:7], s[0:1], s6, v10, 0
	s_waitcnt lgkmcnt(0)
	v_lshrrev_b32_e32 v9, 16, v4
	v_mul_f16_sdwa v1, v42, v9 dst_sel:DWORD dst_unused:UNUSED_PAD src0_sel:WORD_1 src1_sel:DWORD
	v_fma_f16 v1, v42, v4, v1
	v_cvt_f32_f16_e32 v1, v1
	v_mov_b32_e32 v2, v7
	v_mad_u64_u32 v[12:13], s[0:1], s7, v10, v[2:3]
	s_mov_b32 s2, 0x7210aa18
	v_mov_b32_e32 v7, v12
	v_cvt_f64_f32_e32 v[12:13], v1
	s_mov_b32 s3, 0x3f526369
	v_mul_f64 v[12:13], v[12:13], s[2:3]
	s_movk_i32 s6, 0x1ff
	v_and_or_b32 v1, v13, s6, v12
	v_cmp_ne_u32_e32 vcc, 0, v1
	v_lshrrev_b32_e32 v2, 8, v13
	s_movk_i32 s7, 0xffe
	v_cndmask_b32_e64 v1, 0, 1, vcc
	v_bfe_u32 v10, v13, 20, 11
	v_and_or_b32 v2, v2, s7, v1
	v_sub_u32_e32 v12, 0x3f1, v10
	v_or_b32_e32 v1, 0x1000, v2
	v_med3_i32 v12, v12, 0, 13
	v_lshrrev_b32_e32 v16, v12, v1
	v_lshlrev_b32_e32 v12, v12, v16
	v_cmp_ne_u32_e32 vcc, v12, v1
	v_add_u32_e32 v10, 0xfffffc10, v10
	v_lshl_or_b32 v12, v10, 12, v2
	v_cndmask_b32_e64 v1, 0, 1, vcc
	v_or_b32_e32 v1, v16, v1
	v_cmp_gt_i32_e32 vcc, 1, v10
	v_mul_f16_sdwa v4, v42, v4 dst_sel:DWORD dst_unused:UNUSED_PAD src0_sel:WORD_1 src1_sel:DWORD
	v_fma_f16 v4, v42, v9, -v4
	v_cndmask_b32_e32 v1, v12, v1, vcc
	v_and_b32_e32 v12, 7, v1
	v_cmp_lt_i32_e32 vcc, 5, v12
	v_cmp_eq_u32_e64 s[0:1], 3, v12
	v_lshrrev_b32_e32 v1, 2, v1
	s_or_b64 vcc, s[0:1], vcc
	v_addc_co_u32_e32 v12, vcc, 0, v1, vcc
	v_mov_b32_e32 v1, 0x7c00
	v_cmp_gt_i32_e32 vcc, 31, v10
	v_cvt_f32_f16_e32 v4, v4
	s_movk_i32 s8, 0x40f
	v_cndmask_b32_e32 v12, v1, v12, vcc
	v_cmp_ne_u32_e32 vcc, 0, v2
	s_mov_b32 s9, 0x8000
	v_and_b32_sdwa v16, v13, s9 dst_sel:DWORD dst_unused:UNUSED_PAD src0_sel:WORD_1 src1_sel:DWORD
	v_cndmask_b32_e64 v2, 0, 1, vcc
	v_lshl_or_b32 v2, v2, 9, v1
	v_cmp_eq_u32_e32 vcc, s8, v10
	s_mov_b32 s10, 0xffff
	v_lshl_add_u64 v[6:7], v[6:7], 2, v[14:15]
	v_cndmask_b32_e32 v10, v12, v2, vcc
	v_cvt_f64_f32_e32 v[12:13], v4
	v_mul_f64 v[12:13], v[12:13], s[2:3]
	v_and_or_b32 v2, v13, s6, v12
	v_cmp_ne_u32_e32 vcc, 0, v2
	v_lshrrev_b32_e32 v4, 8, v13
	v_bfe_u32 v9, v13, 20, 11
	v_cndmask_b32_e64 v2, 0, 1, vcc
	v_and_or_b32 v2, v4, s7, v2
	v_sub_u32_e32 v12, 0x3f1, v9
	v_or_b32_e32 v4, 0x1000, v2
	v_med3_i32 v12, v12, 0, 13
	v_lshrrev_b32_e32 v17, v12, v4
	v_lshlrev_b32_e32 v12, v12, v17
	v_cmp_ne_u32_e32 vcc, v12, v4
	v_add_u32_e32 v9, 0xfffffc10, v9
	v_lshl_or_b32 v12, v9, 12, v2
	v_cndmask_b32_e64 v4, 0, 1, vcc
	v_or_b32_e32 v4, v17, v4
	v_cmp_gt_i32_e32 vcc, 1, v9
	s_nop 1
	v_cndmask_b32_e32 v4, v12, v4, vcc
	v_and_b32_e32 v12, 7, v4
	v_cmp_lt_i32_e32 vcc, 5, v12
	v_cmp_eq_u32_e64 s[0:1], 3, v12
	v_lshrrev_b32_e32 v4, 2, v4
	s_or_b64 vcc, s[0:1], vcc
	v_addc_co_u32_e32 v4, vcc, 0, v4, vcc
	v_cmp_gt_i32_e32 vcc, 31, v9
	s_nop 1
	v_cndmask_b32_e32 v4, v1, v4, vcc
	v_cmp_ne_u32_e32 vcc, 0, v2
	s_nop 1
	v_cndmask_b32_e64 v2, 0, 1, vcc
	v_lshl_or_b32 v2, v2, 9, v1
	v_cmp_eq_u32_e32 vcc, s8, v9
	s_nop 1
	v_cndmask_b32_e32 v2, v4, v2, vcc
	v_lshrrev_b32_e32 v4, 16, v13
	v_mad_u64_u32 v[12:13], s[0:1], s4, v8, 0
	v_and_or_b32 v4, v4, s9, v2
	v_mov_b32_e32 v2, v13
	v_mad_u64_u32 v[8:9], s[0:1], s5, v8, v[2:3]
	v_bitop3_b32 v2, v16, s10, v10 bitop3:0xc8
	v_lshl_or_b32 v2, v4, 16, v2
	v_lshrrev_b32_e32 v4, 16, v5
	v_mov_b32_e32 v13, v8
	v_mul_f16_sdwa v8, v41, v4 dst_sel:DWORD dst_unused:UNUSED_PAD src0_sel:WORD_1 src1_sel:DWORD
	v_fma_f16 v8, v41, v5, v8
	v_cvt_f32_f16_e32 v8, v8
	v_lshl_add_u64 v[6:7], v[12:13], 2, v[6:7]
	global_store_dword v[6:7], v2, off
	v_mul_f16_sdwa v5, v41, v5 dst_sel:DWORD dst_unused:UNUSED_PAD src0_sel:WORD_1 src1_sel:DWORD
	v_cvt_f64_f32_e32 v[8:9], v8
	v_mul_f64 v[8:9], v[8:9], s[2:3]
	v_and_or_b32 v2, v9, s6, v8
	v_cmp_ne_u32_e32 vcc, 0, v2
	v_lshrrev_b32_e32 v8, 8, v9
	v_bfe_u32 v10, v9, 20, 11
	v_cndmask_b32_e64 v2, 0, 1, vcc
	v_and_or_b32 v2, v8, s7, v2
	v_sub_u32_e32 v12, 0x3f1, v10
	v_or_b32_e32 v8, 0x1000, v2
	v_med3_i32 v12, v12, 0, 13
	v_lshrrev_b32_e32 v13, v12, v8
	v_lshlrev_b32_e32 v12, v12, v13
	v_cmp_ne_u32_e32 vcc, v12, v8
	v_add_u32_e32 v10, 0xfffffc10, v10
	v_lshl_or_b32 v12, v10, 12, v2
	v_cndmask_b32_e64 v8, 0, 1, vcc
	v_or_b32_e32 v8, v13, v8
	v_cmp_gt_i32_e32 vcc, 1, v10
	v_fma_f16 v4, v41, v4, -v5
	v_cvt_f32_f16_e32 v4, v4
	v_cndmask_b32_e32 v8, v12, v8, vcc
	v_and_b32_e32 v12, 7, v8
	v_cmp_lt_i32_e32 vcc, 5, v12
	v_cmp_eq_u32_e64 s[0:1], 3, v12
	v_lshrrev_b32_e32 v8, 2, v8
	s_or_b64 vcc, s[0:1], vcc
	v_addc_co_u32_e32 v8, vcc, 0, v8, vcc
	v_cmp_gt_i32_e32 vcc, 31, v10
	v_cvt_f64_f32_e32 v[4:5], v4
	v_mul_f64 v[4:5], v[4:5], s[2:3]
	v_cndmask_b32_e32 v8, v1, v8, vcc
	v_cmp_ne_u32_e32 vcc, 0, v2
	v_and_or_b32 v4, v5, s6, v4
	s_mulk_i32 s5, 0x18c
	v_cndmask_b32_e64 v2, 0, 1, vcc
	v_lshl_or_b32 v2, v2, 9, v1
	v_cmp_eq_u32_e32 vcc, s8, v10
	v_bfe_u32 v10, v5, 20, 11
	v_sub_u32_e32 v12, 0x3f1, v10
	v_cndmask_b32_e32 v2, v8, v2, vcc
	v_cmp_ne_u32_e32 vcc, 0, v4
	v_and_b32_sdwa v8, v9, s9 dst_sel:DWORD dst_unused:UNUSED_PAD src0_sel:WORD_1 src1_sel:DWORD
	v_lshrrev_b32_e32 v9, 8, v5
	v_cndmask_b32_e64 v4, 0, 1, vcc
	v_and_or_b32 v4, v9, s7, v4
	v_or_b32_e32 v9, 0x1000, v4
	v_med3_i32 v12, v12, 0, 13
	v_lshrrev_b32_e32 v13, v12, v9
	v_lshlrev_b32_e32 v12, v12, v13
	v_cmp_ne_u32_e32 vcc, v12, v9
	v_add_u32_e32 v10, 0xfffffc10, v10
	v_lshl_or_b32 v12, v10, 12, v4
	v_cndmask_b32_e64 v9, 0, 1, vcc
	v_or_b32_e32 v9, v13, v9
	v_cmp_gt_i32_e32 vcc, 1, v10
	v_lshrrev_b32_e32 v5, 16, v5
	v_bitop3_b32 v2, v8, s10, v2 bitop3:0xc8
	v_cndmask_b32_e32 v9, v12, v9, vcc
	v_and_b32_e32 v12, 7, v9
	v_cmp_lt_i32_e32 vcc, 5, v12
	v_cmp_eq_u32_e64 s[0:1], 3, v12
	v_lshrrev_b32_e32 v9, 2, v9
	s_or_b64 vcc, s[0:1], vcc
	v_addc_co_u32_e32 v9, vcc, 0, v9, vcc
	v_cmp_gt_i32_e32 vcc, 31, v10
	s_nop 1
	v_cndmask_b32_e32 v9, v1, v9, vcc
	v_cmp_ne_u32_e32 vcc, 0, v4
	s_nop 1
	v_cndmask_b32_e64 v4, 0, 1, vcc
	v_lshl_or_b32 v4, v4, 9, v1
	v_cmp_eq_u32_e32 vcc, s8, v10
	s_nop 1
	v_cndmask_b32_e32 v4, v9, v4, vcc
	v_and_or_b32 v9, v5, s9, v4
	ds_read2_b32 v[4:5], v26 offset0:70 offset1:169
	v_lshl_or_b32 v8, v9, 16, v2
	v_mov_b32_e32 v2, 0x18c
	v_mad_u64_u32 v[6:7], s[0:1], s4, v2, v[6:7]
	s_waitcnt lgkmcnt(0)
	v_lshrrev_b32_e32 v10, 16, v4
	v_mul_f16_sdwa v9, v40, v10 dst_sel:DWORD dst_unused:UNUSED_PAD src0_sel:WORD_1 src1_sel:DWORD
	v_fma_f16 v9, v40, v4, v9
	v_cvt_f32_f16_e32 v9, v9
	v_add_u32_e32 v7, s5, v7
	global_store_dword v[6:7], v8, off
	v_mul_f16_sdwa v4, v40, v4 dst_sel:DWORD dst_unused:UNUSED_PAD src0_sel:WORD_1 src1_sel:DWORD
	v_cvt_f64_f32_e32 v[8:9], v9
	v_mul_f64 v[8:9], v[8:9], s[2:3]
	v_and_or_b32 v8, v9, s6, v8
	v_cmp_ne_u32_e32 vcc, 0, v8
	v_lshrrev_b32_e32 v12, 8, v9
	v_bfe_u32 v13, v9, 20, 11
	v_cndmask_b32_e64 v8, 0, 1, vcc
	v_and_or_b32 v8, v12, s7, v8
	v_sub_u32_e32 v14, 0x3f1, v13
	v_or_b32_e32 v12, 0x1000, v8
	v_med3_i32 v14, v14, 0, 13
	v_lshrrev_b32_e32 v15, v14, v12
	v_lshlrev_b32_e32 v14, v14, v15
	v_cmp_ne_u32_e32 vcc, v14, v12
	v_add_u32_e32 v13, 0xfffffc10, v13
	v_lshl_or_b32 v14, v13, 12, v8
	v_cndmask_b32_e64 v12, 0, 1, vcc
	v_or_b32_e32 v12, v15, v12
	v_cmp_gt_i32_e32 vcc, 1, v13
	v_fma_f16 v4, v40, v10, -v4
	v_cvt_f32_f16_e32 v4, v4
	v_cndmask_b32_e32 v12, v14, v12, vcc
	v_and_b32_e32 v14, 7, v12
	v_cmp_lt_i32_e32 vcc, 5, v14
	v_cmp_eq_u32_e64 s[0:1], 3, v14
	v_lshrrev_b32_e32 v12, 2, v12
	s_or_b64 vcc, s[0:1], vcc
	v_addc_co_u32_e32 v12, vcc, 0, v12, vcc
	v_cmp_gt_i32_e32 vcc, 31, v13
	s_nop 1
	v_cndmask_b32_e32 v12, v1, v12, vcc
	v_cmp_ne_u32_e32 vcc, 0, v8
	s_nop 1
	v_cndmask_b32_e64 v8, 0, 1, vcc
	v_lshl_or_b32 v8, v8, 9, v1
	v_cmp_eq_u32_e32 vcc, s8, v13
	s_nop 1
	v_cndmask_b32_e32 v10, v12, v8, vcc
	v_and_b32_sdwa v12, v9, s9 dst_sel:DWORD dst_unused:UNUSED_PAD src0_sel:WORD_1 src1_sel:DWORD
	v_cvt_f64_f32_e32 v[8:9], v4
	v_mul_f64 v[8:9], v[8:9], s[2:3]
	v_and_or_b32 v4, v9, s6, v8
	v_cmp_ne_u32_e32 vcc, 0, v4
	v_lshrrev_b32_e32 v8, 8, v9
	v_bfe_u32 v13, v9, 20, 11
	v_cndmask_b32_e64 v4, 0, 1, vcc
	v_and_or_b32 v4, v8, s7, v4
	v_sub_u32_e32 v14, 0x3f1, v13
	v_or_b32_e32 v8, 0x1000, v4
	v_med3_i32 v14, v14, 0, 13
	v_lshrrev_b32_e32 v15, v14, v8
	v_lshlrev_b32_e32 v14, v14, v15
	v_cmp_ne_u32_e32 vcc, v14, v8
	v_add_u32_e32 v13, 0xfffffc10, v13
	v_lshl_or_b32 v14, v13, 12, v4
	v_cndmask_b32_e64 v8, 0, 1, vcc
	v_or_b32_e32 v8, v15, v8
	v_cmp_gt_i32_e32 vcc, 1, v13
	s_nop 1
	v_cndmask_b32_e32 v8, v14, v8, vcc
	v_and_b32_e32 v14, 7, v8
	v_cmp_lt_i32_e32 vcc, 5, v14
	v_cmp_eq_u32_e64 s[0:1], 3, v14
	v_lshrrev_b32_e32 v8, 2, v8
	s_or_b64 vcc, s[0:1], vcc
	v_addc_co_u32_e32 v8, vcc, 0, v8, vcc
	v_cmp_gt_i32_e32 vcc, 31, v13
	v_mad_u64_u32 v[6:7], s[0:1], s4, v2, v[6:7]
	s_nop 0
	v_cndmask_b32_e32 v8, v1, v8, vcc
	v_cmp_ne_u32_e32 vcc, 0, v4
	v_add_u32_e32 v7, s5, v7
	s_nop 0
	v_cndmask_b32_e64 v4, 0, 1, vcc
	v_lshl_or_b32 v4, v4, 9, v1
	v_cmp_eq_u32_e32 vcc, s8, v13
	s_nop 1
	v_cndmask_b32_e32 v4, v8, v4, vcc
	v_lshrrev_b32_e32 v8, 16, v9
	v_and_or_b32 v4, v8, s9, v4
	v_bitop3_b32 v8, v12, s10, v10 bitop3:0xc8
	v_lshrrev_b32_e32 v10, 16, v5
	v_lshl_or_b32 v4, v4, 16, v8
	v_mul_f16_sdwa v8, v39, v10 dst_sel:DWORD dst_unused:UNUSED_PAD src0_sel:WORD_1 src1_sel:DWORD
	v_fma_f16 v8, v39, v5, v8
	v_cvt_f32_f16_e32 v8, v8
	global_store_dword v[6:7], v4, off
	v_mul_f16_sdwa v5, v39, v5 dst_sel:DWORD dst_unused:UNUSED_PAD src0_sel:WORD_1 src1_sel:DWORD
	v_fma_f16 v5, v39, v10, -v5
	v_cvt_f64_f32_e32 v[8:9], v8
	v_mul_f64 v[8:9], v[8:9], s[2:3]
	v_and_or_b32 v4, v9, s6, v8
	v_cmp_ne_u32_e32 vcc, 0, v4
	v_lshrrev_b32_e32 v8, 8, v9
	v_bfe_u32 v12, v9, 20, 11
	v_cndmask_b32_e64 v4, 0, 1, vcc
	v_and_or_b32 v4, v8, s7, v4
	v_sub_u32_e32 v13, 0x3f1, v12
	v_or_b32_e32 v8, 0x1000, v4
	v_med3_i32 v13, v13, 0, 13
	v_lshrrev_b32_e32 v14, v13, v8
	v_lshlrev_b32_e32 v13, v13, v14
	v_cmp_ne_u32_e32 vcc, v13, v8
	v_add_u32_e32 v12, 0xfffffc10, v12
	v_lshl_or_b32 v13, v12, 12, v4
	v_cndmask_b32_e64 v8, 0, 1, vcc
	v_or_b32_e32 v8, v14, v8
	v_cmp_gt_i32_e32 vcc, 1, v12
	v_cvt_f32_f16_e32 v5, v5
	s_nop 0
	v_cndmask_b32_e32 v8, v13, v8, vcc
	v_and_b32_e32 v13, 7, v8
	v_cmp_lt_i32_e32 vcc, 5, v13
	v_cmp_eq_u32_e64 s[0:1], 3, v13
	v_lshrrev_b32_e32 v8, 2, v8
	s_or_b64 vcc, s[0:1], vcc
	v_addc_co_u32_e32 v8, vcc, 0, v8, vcc
	v_cmp_gt_i32_e32 vcc, 31, v12
	s_nop 1
	v_cndmask_b32_e32 v8, v1, v8, vcc
	v_cmp_ne_u32_e32 vcc, 0, v4
	s_nop 1
	v_cndmask_b32_e64 v4, 0, 1, vcc
	v_lshl_or_b32 v4, v4, 9, v1
	v_cmp_eq_u32_e32 vcc, s8, v12
	v_and_b32_sdwa v12, v9, s9 dst_sel:DWORD dst_unused:UNUSED_PAD src0_sel:WORD_1 src1_sel:DWORD
	s_nop 0
	v_cndmask_b32_e32 v10, v8, v4, vcc
	v_cvt_f64_f32_e32 v[4:5], v5
	v_mul_f64 v[4:5], v[4:5], s[2:3]
	v_and_or_b32 v4, v5, s6, v4
	v_cmp_ne_u32_e32 vcc, 0, v4
	v_lshrrev_b32_e32 v8, 8, v5
	v_bfe_u32 v9, v5, 20, 11
	v_cndmask_b32_e64 v4, 0, 1, vcc
	v_and_or_b32 v4, v8, s7, v4
	v_sub_u32_e32 v13, 0x3f1, v9
	v_or_b32_e32 v8, 0x1000, v4
	v_med3_i32 v13, v13, 0, 13
	v_lshrrev_b32_e32 v14, v13, v8
	v_lshlrev_b32_e32 v13, v13, v14
	v_cmp_ne_u32_e32 vcc, v13, v8
	v_add_u32_e32 v9, 0xfffffc10, v9
	v_lshl_or_b32 v13, v9, 12, v4
	v_cndmask_b32_e64 v8, 0, 1, vcc
	v_or_b32_e32 v8, v14, v8
	v_cmp_gt_i32_e32 vcc, 1, v9
	s_nop 1
	v_cndmask_b32_e32 v8, v13, v8, vcc
	v_and_b32_e32 v13, 7, v8
	v_cmp_lt_i32_e32 vcc, 5, v13
	v_cmp_eq_u32_e64 s[0:1], 3, v13
	v_lshrrev_b32_e32 v8, 2, v8
	s_or_b64 vcc, s[0:1], vcc
	v_addc_co_u32_e32 v8, vcc, 0, v8, vcc
	v_cmp_gt_i32_e32 vcc, 31, v9
	s_nop 1
	v_cndmask_b32_e32 v8, v1, v8, vcc
	v_cmp_ne_u32_e32 vcc, 0, v4
	s_nop 1
	v_cndmask_b32_e64 v4, 0, 1, vcc
	v_lshl_or_b32 v4, v4, 9, v1
	v_cmp_eq_u32_e32 vcc, s8, v9
	s_nop 1
	v_cndmask_b32_e32 v4, v8, v4, vcc
	ds_read2_b32 v[8:9], v3 offset0:140 offset1:239
	v_lshrrev_b32_e32 v3, 16, v5
	v_and_or_b32 v3, v3, s9, v4
	v_bitop3_b32 v4, v12, s10, v10 bitop3:0xc8
	v_lshl_or_b32 v3, v3, 16, v4
	s_waitcnt lgkmcnt(0)
	v_lshrrev_b32_e32 v10, 16, v8
	v_mul_f16_sdwa v4, v38, v10 dst_sel:DWORD dst_unused:UNUSED_PAD src0_sel:WORD_1 src1_sel:DWORD
	v_fma_f16 v4, v38, v8, v4
	v_cvt_f32_f16_e32 v12, v4
	v_mad_u64_u32 v[4:5], s[0:1], s4, v2, v[6:7]
	v_add_u32_e32 v5, s5, v5
	v_cvt_f64_f32_e32 v[6:7], v12
	v_mul_f64 v[6:7], v[6:7], s[2:3]
	global_store_dword v[4:5], v3, off
	v_and_or_b32 v3, v7, s6, v6
	v_cmp_ne_u32_e32 vcc, 0, v3
	v_lshrrev_b32_e32 v6, 8, v7
	v_bfe_u32 v12, v7, 20, 11
	v_cndmask_b32_e64 v3, 0, 1, vcc
	v_and_or_b32 v3, v6, s7, v3
	v_sub_u32_e32 v13, 0x3f1, v12
	v_or_b32_e32 v6, 0x1000, v3
	v_med3_i32 v13, v13, 0, 13
	v_lshrrev_b32_e32 v14, v13, v6
	v_lshlrev_b32_e32 v13, v13, v14
	v_cmp_ne_u32_e32 vcc, v13, v6
	v_add_u32_e32 v12, 0xfffffc10, v12
	v_lshl_or_b32 v13, v12, 12, v3
	v_cndmask_b32_e64 v6, 0, 1, vcc
	v_or_b32_e32 v6, v14, v6
	v_cmp_gt_i32_e32 vcc, 1, v12
	v_mul_f16_sdwa v8, v38, v8 dst_sel:DWORD dst_unused:UNUSED_PAD src0_sel:WORD_1 src1_sel:DWORD
	v_fma_f16 v8, v38, v10, -v8
	v_cndmask_b32_e32 v6, v13, v6, vcc
	v_and_b32_e32 v13, 7, v6
	v_cmp_lt_i32_e32 vcc, 5, v13
	v_cmp_eq_u32_e64 s[0:1], 3, v13
	v_lshrrev_b32_e32 v6, 2, v6
	s_or_b64 vcc, s[0:1], vcc
	v_addc_co_u32_e32 v6, vcc, 0, v6, vcc
	v_cmp_gt_i32_e32 vcc, 31, v12
	v_cvt_f32_f16_e32 v8, v8
	v_and_b32_sdwa v10, v7, s9 dst_sel:DWORD dst_unused:UNUSED_PAD src0_sel:WORD_1 src1_sel:DWORD
	v_cndmask_b32_e32 v6, v1, v6, vcc
	v_cmp_ne_u32_e32 vcc, 0, v3
	s_nop 1
	v_cndmask_b32_e64 v3, 0, 1, vcc
	v_lshl_or_b32 v3, v3, 9, v1
	v_cmp_eq_u32_e32 vcc, s8, v12
	s_nop 1
	v_cndmask_b32_e32 v3, v6, v3, vcc
	v_cvt_f64_f32_e32 v[6:7], v8
	v_mul_f64 v[6:7], v[6:7], s[2:3]
	v_and_or_b32 v6, v7, s6, v6
	v_cmp_ne_u32_e32 vcc, 0, v6
	v_lshrrev_b32_e32 v8, 8, v7
	v_bfe_u32 v12, v7, 20, 11
	v_cndmask_b32_e64 v6, 0, 1, vcc
	v_and_or_b32 v6, v8, s7, v6
	v_sub_u32_e32 v13, 0x3f1, v12
	v_or_b32_e32 v8, 0x1000, v6
	v_med3_i32 v13, v13, 0, 13
	v_lshrrev_b32_e32 v14, v13, v8
	v_lshlrev_b32_e32 v13, v13, v14
	v_cmp_ne_u32_e32 vcc, v13, v8
	v_add_u32_e32 v12, 0xfffffc10, v12
	v_lshl_or_b32 v13, v12, 12, v6
	v_cndmask_b32_e64 v8, 0, 1, vcc
	v_or_b32_e32 v8, v14, v8
	v_cmp_gt_i32_e32 vcc, 1, v12
	v_lshrrev_b32_e32 v7, 16, v7
	v_bitop3_b32 v3, v10, s10, v3 bitop3:0xc8
	v_cndmask_b32_e32 v8, v13, v8, vcc
	v_and_b32_e32 v13, 7, v8
	v_cmp_lt_i32_e32 vcc, 5, v13
	v_cmp_eq_u32_e64 s[0:1], 3, v13
	v_lshrrev_b32_e32 v8, 2, v8
	s_or_b64 vcc, s[0:1], vcc
	v_addc_co_u32_e32 v8, vcc, 0, v8, vcc
	v_cmp_gt_i32_e32 vcc, 31, v12
	v_mad_u64_u32 v[4:5], s[0:1], s4, v2, v[4:5]
	s_nop 0
	v_cndmask_b32_e32 v8, v1, v8, vcc
	v_cmp_ne_u32_e32 vcc, 0, v6
	v_add_u32_e32 v5, s5, v5
	s_nop 0
	v_cndmask_b32_e64 v6, 0, 1, vcc
	v_lshl_or_b32 v6, v6, 9, v1
	v_cmp_eq_u32_e32 vcc, s8, v12
	s_nop 1
	v_cndmask_b32_e32 v6, v8, v6, vcc
	v_and_or_b32 v6, v7, s9, v6
	v_lshrrev_b32_e32 v8, 16, v9
	v_lshl_or_b32 v3, v6, 16, v3
	v_mul_f16_sdwa v6, v37, v8 dst_sel:DWORD dst_unused:UNUSED_PAD src0_sel:WORD_1 src1_sel:DWORD
	v_fma_f16 v6, v37, v9, v6
	v_cvt_f32_f16_e32 v6, v6
	global_store_dword v[4:5], v3, off
	v_mul_f16_sdwa v9, v37, v9 dst_sel:DWORD dst_unused:UNUSED_PAD src0_sel:WORD_1 src1_sel:DWORD
	v_fma_f16 v8, v37, v8, -v9
	v_cvt_f64_f32_e32 v[6:7], v6
	v_mul_f64 v[6:7], v[6:7], s[2:3]
	v_and_or_b32 v3, v7, s6, v6
	v_cmp_ne_u32_e32 vcc, 0, v3
	v_lshrrev_b32_e32 v6, 8, v7
	v_bfe_u32 v10, v7, 20, 11
	v_cndmask_b32_e64 v3, 0, 1, vcc
	v_and_or_b32 v3, v6, s7, v3
	v_sub_u32_e32 v12, 0x3f1, v10
	v_or_b32_e32 v6, 0x1000, v3
	v_med3_i32 v12, v12, 0, 13
	v_lshrrev_b32_e32 v13, v12, v6
	v_lshlrev_b32_e32 v12, v12, v13
	v_cmp_ne_u32_e32 vcc, v12, v6
	v_add_u32_e32 v10, 0xfffffc10, v10
	v_lshl_or_b32 v12, v10, 12, v3
	v_cndmask_b32_e64 v6, 0, 1, vcc
	v_or_b32_e32 v6, v13, v6
	v_cmp_gt_i32_e32 vcc, 1, v10
	v_cvt_f32_f16_e32 v8, v8
	s_nop 0
	v_cndmask_b32_e32 v6, v12, v6, vcc
	v_and_b32_e32 v12, 7, v6
	v_cmp_lt_i32_e32 vcc, 5, v12
	v_cmp_eq_u32_e64 s[0:1], 3, v12
	v_lshrrev_b32_e32 v6, 2, v6
	s_or_b64 vcc, s[0:1], vcc
	v_addc_co_u32_e32 v6, vcc, 0, v6, vcc
	v_cmp_gt_i32_e32 vcc, 31, v10
	s_nop 1
	v_cndmask_b32_e32 v6, v1, v6, vcc
	v_cmp_ne_u32_e32 vcc, 0, v3
	s_nop 1
	v_cndmask_b32_e64 v3, 0, 1, vcc
	v_lshl_or_b32 v3, v3, 9, v1
	v_cmp_eq_u32_e32 vcc, s8, v10
	v_and_b32_sdwa v10, v7, s9 dst_sel:DWORD dst_unused:UNUSED_PAD src0_sel:WORD_1 src1_sel:DWORD
	s_nop 0
	v_cndmask_b32_e32 v3, v6, v3, vcc
	v_cvt_f64_f32_e32 v[6:7], v8
	v_mul_f64 v[6:7], v[6:7], s[2:3]
	v_and_or_b32 v6, v7, s6, v6
	v_cmp_ne_u32_e32 vcc, 0, v6
	v_lshrrev_b32_e32 v8, 8, v7
	v_bfe_u32 v9, v7, 20, 11
	v_cndmask_b32_e64 v6, 0, 1, vcc
	v_and_or_b32 v6, v8, s7, v6
	v_sub_u32_e32 v12, 0x3f1, v9
	v_or_b32_e32 v8, 0x1000, v6
	v_med3_i32 v12, v12, 0, 13
	v_lshrrev_b32_e32 v13, v12, v8
	v_lshlrev_b32_e32 v12, v12, v13
	v_cmp_ne_u32_e32 vcc, v12, v8
	v_add_u32_e32 v9, 0xfffffc10, v9
	v_lshl_or_b32 v12, v9, 12, v6
	v_cndmask_b32_e64 v8, 0, 1, vcc
	v_or_b32_e32 v8, v13, v8
	v_cmp_gt_i32_e32 vcc, 1, v9
	v_bitop3_b32 v3, v10, s10, v3 bitop3:0xc8
	s_nop 0
	v_cndmask_b32_e32 v8, v12, v8, vcc
	v_and_b32_e32 v12, 7, v8
	v_cmp_lt_i32_e32 vcc, 5, v12
	v_cmp_eq_u32_e64 s[0:1], 3, v12
	v_lshrrev_b32_e32 v8, 2, v8
	s_or_b64 vcc, s[0:1], vcc
	v_addc_co_u32_e32 v8, vcc, 0, v8, vcc
	v_cmp_gt_i32_e32 vcc, 31, v9
	v_mad_u64_u32 v[4:5], s[0:1], s4, v2, v[4:5]
	s_nop 0
	v_cndmask_b32_e32 v8, v1, v8, vcc
	v_cmp_ne_u32_e32 vcc, 0, v6
	v_add_u32_e32 v5, s5, v5
	s_nop 0
	v_cndmask_b32_e64 v6, 0, 1, vcc
	v_lshl_or_b32 v6, v6, 9, v1
	v_cmp_eq_u32_e32 vcc, s8, v9
	s_nop 1
	v_cndmask_b32_e32 v6, v8, v6, vcc
	ds_read2_b32 v[8:9], v0 offset0:82 offset1:181
	v_lshrrev_b32_e32 v0, 16, v7
	v_and_or_b32 v0, v0, s9, v6
	v_lshl_or_b32 v0, v0, 16, v3
	global_store_dword v[4:5], v0, off
	s_waitcnt lgkmcnt(0)
	v_lshrrev_b32_e32 v3, 16, v8
	v_mul_f16_sdwa v6, v36, v3 dst_sel:DWORD dst_unused:UNUSED_PAD src0_sel:WORD_1 src1_sel:DWORD
	v_fma_f16 v6, v36, v8, v6
	v_cvt_f32_f16_e32 v6, v6
	v_mul_f16_sdwa v8, v36, v8 dst_sel:DWORD dst_unused:UNUSED_PAD src0_sel:WORD_1 src1_sel:DWORD
	v_fma_f16 v3, v36, v3, -v8
	v_cvt_f32_f16_e32 v3, v3
	v_cvt_f64_f32_e32 v[6:7], v6
	v_mul_f64 v[6:7], v[6:7], s[2:3]
	v_and_or_b32 v0, v7, s6, v6
	v_cmp_ne_u32_e32 vcc, 0, v0
	v_lshrrev_b32_e32 v6, 8, v7
	v_bfe_u32 v10, v7, 20, 11
	v_cndmask_b32_e64 v0, 0, 1, vcc
	v_and_or_b32 v0, v6, s7, v0
	v_sub_u32_e32 v12, 0x3f1, v10
	v_or_b32_e32 v6, 0x1000, v0
	v_med3_i32 v12, v12, 0, 13
	v_lshrrev_b32_e32 v13, v12, v6
	v_lshlrev_b32_e32 v12, v12, v13
	v_cmp_ne_u32_e32 vcc, v12, v6
	v_add_u32_e32 v10, 0xfffffc10, v10
	v_lshl_or_b32 v12, v10, 12, v0
	v_cndmask_b32_e64 v6, 0, 1, vcc
	v_or_b32_e32 v6, v13, v6
	v_cmp_gt_i32_e32 vcc, 1, v10
	v_and_b32_sdwa v8, v7, s9 dst_sel:DWORD dst_unused:UNUSED_PAD src0_sel:WORD_1 src1_sel:DWORD
	s_nop 0
	v_cndmask_b32_e32 v6, v12, v6, vcc
	v_and_b32_e32 v12, 7, v6
	v_cmp_lt_i32_e32 vcc, 5, v12
	v_cmp_eq_u32_e64 s[0:1], 3, v12
	v_lshrrev_b32_e32 v6, 2, v6
	s_or_b64 vcc, s[0:1], vcc
	v_addc_co_u32_e32 v6, vcc, 0, v6, vcc
	v_cmp_gt_i32_e32 vcc, 31, v10
	s_nop 1
	v_cndmask_b32_e32 v6, v1, v6, vcc
	v_cmp_ne_u32_e32 vcc, 0, v0
	s_nop 1
	v_cndmask_b32_e64 v0, 0, 1, vcc
	v_lshl_or_b32 v0, v0, 9, v1
	v_cmp_eq_u32_e32 vcc, s8, v10
	s_nop 1
	v_cndmask_b32_e32 v0, v6, v0, vcc
	v_cvt_f64_f32_e32 v[6:7], v3
	v_mul_f64 v[6:7], v[6:7], s[2:3]
	v_and_or_b32 v3, v7, s6, v6
	v_cmp_ne_u32_e32 vcc, 0, v3
	v_lshrrev_b32_e32 v6, 8, v7
	v_bfe_u32 v10, v7, 20, 11
	v_cndmask_b32_e64 v3, 0, 1, vcc
	v_and_or_b32 v3, v6, s7, v3
	v_sub_u32_e32 v12, 0x3f1, v10
	v_or_b32_e32 v6, 0x1000, v3
	v_med3_i32 v12, v12, 0, 13
	v_lshrrev_b32_e32 v13, v12, v6
	v_lshlrev_b32_e32 v12, v12, v13
	v_cmp_ne_u32_e32 vcc, v12, v6
	v_add_u32_e32 v10, 0xfffffc10, v10
	v_lshl_or_b32 v12, v10, 12, v3
	v_cndmask_b32_e64 v6, 0, 1, vcc
	v_or_b32_e32 v6, v13, v6
	v_cmp_gt_i32_e32 vcc, 1, v10
	v_bitop3_b32 v0, v8, s10, v0 bitop3:0xc8
	s_nop 0
	v_cndmask_b32_e32 v6, v12, v6, vcc
	v_and_b32_e32 v12, 7, v6
	v_cmp_lt_i32_e32 vcc, 5, v12
	v_cmp_eq_u32_e64 s[0:1], 3, v12
	v_lshrrev_b32_e32 v6, 2, v6
	s_or_b64 vcc, s[0:1], vcc
	v_addc_co_u32_e32 v6, vcc, 0, v6, vcc
	v_cmp_gt_i32_e32 vcc, 31, v10
	v_mad_u64_u32 v[4:5], s[0:1], s4, v2, v[4:5]
	s_nop 0
	v_cndmask_b32_e32 v6, v1, v6, vcc
	v_cmp_ne_u32_e32 vcc, 0, v3
	v_add_u32_e32 v5, s5, v5
	s_nop 0
	v_cndmask_b32_e64 v3, 0, 1, vcc
	v_lshl_or_b32 v3, v3, 9, v1
	v_cmp_eq_u32_e32 vcc, s8, v10
	s_nop 1
	v_cndmask_b32_e32 v3, v6, v3, vcc
	v_lshrrev_b32_e32 v6, 16, v7
	v_and_or_b32 v3, v6, s9, v3
	v_lshl_or_b32 v0, v3, 16, v0
	v_lshrrev_b32_e32 v3, 16, v9
	v_mul_f16_sdwa v6, v35, v3 dst_sel:DWORD dst_unused:UNUSED_PAD src0_sel:WORD_1 src1_sel:DWORD
	v_fma_f16 v6, v35, v9, v6
	v_cvt_f32_f16_e32 v6, v6
	global_store_dword v[4:5], v0, off
	v_mul_f16_sdwa v9, v35, v9 dst_sel:DWORD dst_unused:UNUSED_PAD src0_sel:WORD_1 src1_sel:DWORD
	v_fma_f16 v3, v35, v3, -v9
	v_cvt_f64_f32_e32 v[6:7], v6
	v_mul_f64 v[6:7], v[6:7], s[2:3]
	v_and_or_b32 v0, v7, s6, v6
	v_cmp_ne_u32_e32 vcc, 0, v0
	v_lshrrev_b32_e32 v6, 8, v7
	v_bfe_u32 v8, v7, 20, 11
	v_cndmask_b32_e64 v0, 0, 1, vcc
	v_and_or_b32 v0, v6, s7, v0
	v_sub_u32_e32 v10, 0x3f1, v8
	v_or_b32_e32 v6, 0x1000, v0
	v_med3_i32 v10, v10, 0, 13
	v_lshrrev_b32_e32 v12, v10, v6
	v_lshlrev_b32_e32 v10, v10, v12
	v_cmp_ne_u32_e32 vcc, v10, v6
	v_add_u32_e32 v8, 0xfffffc10, v8
	v_lshl_or_b32 v10, v8, 12, v0
	v_cndmask_b32_e64 v6, 0, 1, vcc
	v_or_b32_e32 v6, v12, v6
	v_cmp_gt_i32_e32 vcc, 1, v8
	v_cvt_f32_f16_e32 v3, v3
	s_nop 0
	v_cndmask_b32_e32 v6, v10, v6, vcc
	v_and_b32_e32 v10, 7, v6
	v_cmp_lt_i32_e32 vcc, 5, v10
	v_cmp_eq_u32_e64 s[0:1], 3, v10
	v_lshrrev_b32_e32 v6, 2, v6
	s_or_b64 vcc, s[0:1], vcc
	v_addc_co_u32_e32 v6, vcc, 0, v6, vcc
	v_cmp_gt_i32_e32 vcc, 31, v8
	s_nop 1
	v_cndmask_b32_e32 v6, v1, v6, vcc
	v_cmp_ne_u32_e32 vcc, 0, v0
	s_nop 1
	v_cndmask_b32_e64 v0, 0, 1, vcc
	v_lshl_or_b32 v0, v0, 9, v1
	v_cmp_eq_u32_e32 vcc, s8, v8
	v_and_b32_sdwa v8, v7, s9 dst_sel:DWORD dst_unused:UNUSED_PAD src0_sel:WORD_1 src1_sel:DWORD
	s_nop 0
	v_cndmask_b32_e32 v0, v6, v0, vcc
	v_cvt_f64_f32_e32 v[6:7], v3
	v_mul_f64 v[6:7], v[6:7], s[2:3]
	v_and_or_b32 v3, v7, s6, v6
	v_cmp_ne_u32_e32 vcc, 0, v3
	v_lshrrev_b32_e32 v6, 8, v7
	v_bfe_u32 v9, v7, 20, 11
	v_cndmask_b32_e64 v3, 0, 1, vcc
	v_and_or_b32 v3, v6, s7, v3
	v_sub_u32_e32 v10, 0x3f1, v9
	v_or_b32_e32 v6, 0x1000, v3
	v_med3_i32 v10, v10, 0, 13
	v_lshrrev_b32_e32 v12, v10, v6
	v_lshlrev_b32_e32 v10, v10, v12
	v_cmp_ne_u32_e32 vcc, v10, v6
	v_add_u32_e32 v9, 0xfffffc10, v9
	v_lshl_or_b32 v10, v9, 12, v3
	v_cndmask_b32_e64 v6, 0, 1, vcc
	v_or_b32_e32 v6, v12, v6
	v_cmp_gt_i32_e32 vcc, 1, v9
	v_bitop3_b32 v0, v8, s10, v0 bitop3:0xc8
	s_nop 0
	v_cndmask_b32_e32 v6, v10, v6, vcc
	v_and_b32_e32 v10, 7, v6
	v_cmp_lt_i32_e32 vcc, 5, v10
	v_cmp_eq_u32_e64 s[0:1], 3, v10
	v_lshrrev_b32_e32 v6, 2, v6
	s_or_b64 vcc, s[0:1], vcc
	v_addc_co_u32_e32 v6, vcc, 0, v6, vcc
	v_cmp_gt_i32_e32 vcc, 31, v9
	v_mad_u64_u32 v[4:5], s[0:1], s4, v2, v[4:5]
	s_nop 0
	v_cndmask_b32_e32 v6, v1, v6, vcc
	v_cmp_ne_u32_e32 vcc, 0, v3
	v_add_u32_e32 v5, s5, v5
	s_nop 0
	v_cndmask_b32_e64 v3, 0, 1, vcc
	v_cmp_eq_u32_e32 vcc, s8, v9
	ds_read_b32 v9, v34 offset:3168
	v_lshl_or_b32 v3, v3, 9, v1
	v_cndmask_b32_e32 v3, v6, v3, vcc
	v_lshrrev_b32_e32 v6, 16, v7
	v_and_or_b32 v3, v6, s9, v3
	v_lshl_or_b32 v0, v3, 16, v0
	s_waitcnt lgkmcnt(0)
	v_lshrrev_b32_e32 v3, 16, v9
	v_mul_f16_sdwa v6, v11, v3 dst_sel:DWORD dst_unused:UNUSED_PAD src0_sel:WORD_1 src1_sel:DWORD
	v_fma_f16 v6, v11, v9, v6
	v_cvt_f32_f16_e32 v6, v6
	global_store_dword v[4:5], v0, off
	v_mul_f16_sdwa v9, v11, v9 dst_sel:DWORD dst_unused:UNUSED_PAD src0_sel:WORD_1 src1_sel:DWORD
	v_fma_f16 v3, v11, v3, -v9
	v_cvt_f64_f32_e32 v[6:7], v6
	v_mul_f64 v[6:7], v[6:7], s[2:3]
	v_and_or_b32 v0, v7, s6, v6
	v_cmp_ne_u32_e32 vcc, 0, v0
	v_lshrrev_b32_e32 v6, 8, v7
	v_bfe_u32 v8, v7, 20, 11
	v_cndmask_b32_e64 v0, 0, 1, vcc
	v_and_or_b32 v0, v6, s7, v0
	v_sub_u32_e32 v10, 0x3f1, v8
	v_or_b32_e32 v6, 0x1000, v0
	v_med3_i32 v10, v10, 0, 13
	v_lshrrev_b32_e32 v12, v10, v6
	v_lshlrev_b32_e32 v10, v10, v12
	v_cmp_ne_u32_e32 vcc, v10, v6
	v_add_u32_e32 v8, 0xfffffc10, v8
	v_lshl_or_b32 v10, v8, 12, v0
	v_cndmask_b32_e64 v6, 0, 1, vcc
	v_or_b32_e32 v6, v12, v6
	v_cmp_gt_i32_e32 vcc, 1, v8
	v_cvt_f32_f16_e32 v3, v3
	s_nop 0
	v_cndmask_b32_e32 v6, v10, v6, vcc
	v_and_b32_e32 v10, 7, v6
	v_cmp_lt_i32_e32 vcc, 5, v10
	v_cmp_eq_u32_e64 s[0:1], 3, v10
	v_lshrrev_b32_e32 v6, 2, v6
	s_or_b64 vcc, s[0:1], vcc
	v_addc_co_u32_e32 v6, vcc, 0, v6, vcc
	v_cmp_gt_i32_e32 vcc, 31, v8
	s_nop 1
	v_cndmask_b32_e32 v6, v1, v6, vcc
	v_cmp_ne_u32_e32 vcc, 0, v0
	s_nop 1
	v_cndmask_b32_e64 v0, 0, 1, vcc
	v_lshl_or_b32 v0, v0, 9, v1
	v_cmp_eq_u32_e32 vcc, s8, v8
	v_and_b32_sdwa v8, v7, s9 dst_sel:DWORD dst_unused:UNUSED_PAD src0_sel:WORD_1 src1_sel:DWORD
	s_nop 0
	v_cndmask_b32_e32 v0, v6, v0, vcc
	v_cvt_f64_f32_e32 v[6:7], v3
	v_mul_f64 v[6:7], v[6:7], s[2:3]
	v_and_or_b32 v3, v7, s6, v6
	v_cmp_ne_u32_e32 vcc, 0, v3
	v_lshrrev_b32_e32 v6, 8, v7
	v_bfe_u32 v9, v7, 20, 11
	v_cndmask_b32_e64 v3, 0, 1, vcc
	v_and_or_b32 v3, v6, s7, v3
	v_sub_u32_e32 v10, 0x3f1, v9
	v_or_b32_e32 v6, 0x1000, v3
	v_med3_i32 v10, v10, 0, 13
	v_lshrrev_b32_e32 v11, v10, v6
	v_lshlrev_b32_e32 v10, v10, v11
	v_cmp_ne_u32_e32 vcc, v10, v6
	v_add_u32_e32 v9, 0xfffffc10, v9
	v_lshl_or_b32 v10, v9, 12, v3
	v_cndmask_b32_e64 v6, 0, 1, vcc
	v_or_b32_e32 v6, v11, v6
	v_cmp_gt_i32_e32 vcc, 1, v9
	v_bitop3_b32 v0, v8, s10, v0 bitop3:0xc8
	s_nop 0
	v_cndmask_b32_e32 v6, v10, v6, vcc
	v_and_b32_e32 v10, 7, v6
	v_cmp_lt_i32_e32 vcc, 5, v10
	v_cmp_eq_u32_e64 s[0:1], 3, v10
	v_lshrrev_b32_e32 v6, 2, v6
	s_or_b64 vcc, s[0:1], vcc
	v_addc_co_u32_e32 v6, vcc, 0, v6, vcc
	v_cmp_gt_i32_e32 vcc, 31, v9
	s_nop 1
	v_cndmask_b32_e32 v6, v1, v6, vcc
	v_cmp_ne_u32_e32 vcc, 0, v3
	s_nop 1
	v_cndmask_b32_e64 v3, 0, 1, vcc
	v_lshl_or_b32 v1, v3, 9, v1
	v_cmp_eq_u32_e32 vcc, s8, v9
	v_lshrrev_b32_e32 v3, 16, v7
	s_nop 0
	v_cndmask_b32_e32 v1, v6, v1, vcc
	v_and_or_b32 v1, v3, s9, v1
	v_lshl_or_b32 v3, v1, 16, v0
	v_mad_u64_u32 v[0:1], s[0:1], s4, v2, v[4:5]
	v_add_u32_e32 v1, s5, v1
	global_store_dword v[0:1], v3, off
.LBB0_10:
	s_endpgm
	.section	.rodata,"a",@progbits
	.p2align	6, 0x0
	.amdhsa_kernel bluestein_single_back_len891_dim1_half_op_CI_CI
		.amdhsa_group_segment_fixed_size 7128
		.amdhsa_private_segment_fixed_size 0
		.amdhsa_kernarg_size 104
		.amdhsa_user_sgpr_count 2
		.amdhsa_user_sgpr_dispatch_ptr 0
		.amdhsa_user_sgpr_queue_ptr 0
		.amdhsa_user_sgpr_kernarg_segment_ptr 1
		.amdhsa_user_sgpr_dispatch_id 0
		.amdhsa_user_sgpr_kernarg_preload_length 0
		.amdhsa_user_sgpr_kernarg_preload_offset 0
		.amdhsa_user_sgpr_private_segment_size 0
		.amdhsa_uses_dynamic_stack 0
		.amdhsa_enable_private_segment 0
		.amdhsa_system_sgpr_workgroup_id_x 1
		.amdhsa_system_sgpr_workgroup_id_y 0
		.amdhsa_system_sgpr_workgroup_id_z 0
		.amdhsa_system_sgpr_workgroup_info 0
		.amdhsa_system_vgpr_workitem_id 0
		.amdhsa_next_free_vgpr 127
		.amdhsa_next_free_sgpr 26
		.amdhsa_accum_offset 128
		.amdhsa_reserve_vcc 1
		.amdhsa_float_round_mode_32 0
		.amdhsa_float_round_mode_16_64 0
		.amdhsa_float_denorm_mode_32 3
		.amdhsa_float_denorm_mode_16_64 3
		.amdhsa_dx10_clamp 1
		.amdhsa_ieee_mode 1
		.amdhsa_fp16_overflow 0
		.amdhsa_tg_split 0
		.amdhsa_exception_fp_ieee_invalid_op 0
		.amdhsa_exception_fp_denorm_src 0
		.amdhsa_exception_fp_ieee_div_zero 0
		.amdhsa_exception_fp_ieee_overflow 0
		.amdhsa_exception_fp_ieee_underflow 0
		.amdhsa_exception_fp_ieee_inexact 0
		.amdhsa_exception_int_div_zero 0
	.end_amdhsa_kernel
	.text
.Lfunc_end0:
	.size	bluestein_single_back_len891_dim1_half_op_CI_CI, .Lfunc_end0-bluestein_single_back_len891_dim1_half_op_CI_CI
                                        ; -- End function
	.section	.AMDGPU.csdata,"",@progbits
; Kernel info:
; codeLenInByte = 16156
; NumSgprs: 32
; NumVgprs: 127
; NumAgprs: 0
; TotalNumVgprs: 127
; ScratchSize: 0
; MemoryBound: 0
; FloatMode: 240
; IeeeMode: 1
; LDSByteSize: 7128 bytes/workgroup (compile time only)
; SGPRBlocks: 3
; VGPRBlocks: 15
; NumSGPRsForWavesPerEU: 32
; NumVGPRsForWavesPerEU: 127
; AccumOffset: 128
; Occupancy: 4
; WaveLimiterHint : 1
; COMPUTE_PGM_RSRC2:SCRATCH_EN: 0
; COMPUTE_PGM_RSRC2:USER_SGPR: 2
; COMPUTE_PGM_RSRC2:TRAP_HANDLER: 0
; COMPUTE_PGM_RSRC2:TGID_X_EN: 1
; COMPUTE_PGM_RSRC2:TGID_Y_EN: 0
; COMPUTE_PGM_RSRC2:TGID_Z_EN: 0
; COMPUTE_PGM_RSRC2:TIDIG_COMP_CNT: 0
; COMPUTE_PGM_RSRC3_GFX90A:ACCUM_OFFSET: 31
; COMPUTE_PGM_RSRC3_GFX90A:TG_SPLIT: 0
	.text
	.p2alignl 6, 3212836864
	.fill 256, 4, 3212836864
	.type	__hip_cuid_e01b88ac05883af4,@object ; @__hip_cuid_e01b88ac05883af4
	.section	.bss,"aw",@nobits
	.globl	__hip_cuid_e01b88ac05883af4
__hip_cuid_e01b88ac05883af4:
	.byte	0                               ; 0x0
	.size	__hip_cuid_e01b88ac05883af4, 1

	.ident	"AMD clang version 19.0.0git (https://github.com/RadeonOpenCompute/llvm-project roc-6.4.0 25133 c7fe45cf4b819c5991fe208aaa96edf142730f1d)"
	.section	".note.GNU-stack","",@progbits
	.addrsig
	.addrsig_sym __hip_cuid_e01b88ac05883af4
	.amdgpu_metadata
---
amdhsa.kernels:
  - .agpr_count:     0
    .args:
      - .actual_access:  read_only
        .address_space:  global
        .offset:         0
        .size:           8
        .value_kind:     global_buffer
      - .actual_access:  read_only
        .address_space:  global
        .offset:         8
        .size:           8
        .value_kind:     global_buffer
      - .actual_access:  read_only
        .address_space:  global
        .offset:         16
        .size:           8
        .value_kind:     global_buffer
      - .actual_access:  read_only
        .address_space:  global
        .offset:         24
        .size:           8
        .value_kind:     global_buffer
      - .actual_access:  read_only
        .address_space:  global
        .offset:         32
        .size:           8
        .value_kind:     global_buffer
      - .offset:         40
        .size:           8
        .value_kind:     by_value
      - .address_space:  global
        .offset:         48
        .size:           8
        .value_kind:     global_buffer
      - .address_space:  global
        .offset:         56
        .size:           8
        .value_kind:     global_buffer
      - .address_space:  global
        .offset:         64
        .size:           8
        .value_kind:     global_buffer
      - .address_space:  global
        .offset:         72
        .size:           8
        .value_kind:     global_buffer
      - .offset:         80
        .size:           4
        .value_kind:     by_value
      - .address_space:  global
        .offset:         88
        .size:           8
        .value_kind:     global_buffer
      - .address_space:  global
        .offset:         96
        .size:           8
        .value_kind:     global_buffer
    .group_segment_fixed_size: 7128
    .kernarg_segment_align: 8
    .kernarg_segment_size: 104
    .language:       OpenCL C
    .language_version:
      - 2
      - 0
    .max_flat_workgroup_size: 198
    .name:           bluestein_single_back_len891_dim1_half_op_CI_CI
    .private_segment_fixed_size: 0
    .sgpr_count:     32
    .sgpr_spill_count: 0
    .symbol:         bluestein_single_back_len891_dim1_half_op_CI_CI.kd
    .uniform_work_group_size: 1
    .uses_dynamic_stack: false
    .vgpr_count:     127
    .vgpr_spill_count: 0
    .wavefront_size: 64
amdhsa.target:   amdgcn-amd-amdhsa--gfx950
amdhsa.version:
  - 1
  - 2
...

	.end_amdgpu_metadata
